;; amdgpu-corpus repo=ROCm/aiter kind=harvested arch=n/a opt=n/a

/root/src/amdgpu-assembly/repos/ROCm__aiter/hsa/gfx942/fmoe_2stages/fmoe_stage1_bf16_pertokenFp8_g1u1_48x256_pf3.co:	file format elf64-amdgpu

Disassembly of section .text:

0000000000002a00 <_ZN5aiter44fmoe_stage1_bf16_pertokenFp8_g1u1_48x256_pf3E>:
	s_and_b32 s1, s1, 0xffff                                   // 000000002A00: 8601FF01 0000FFFF
	s_load_dwordx2 s[8:9], s[0:1], 0x0                         // 000000002A08: C0060200 00000000
	s_load_dwordx2 s[20:21], s[0:1], 0x10                      // 000000002A10: C0060500 00000010
	s_load_dwordx2 s[24:25], s[0:1], 0x20                      // 000000002A18: C0060600 00000020
	s_load_dwordx2 s[48:49], s[0:1], 0x30                      // 000000002A20: C0060C00 00000030
	s_load_dwordx2 s[28:29], s[0:1], 0x40                      // 000000002A28: C0060700 00000040
	s_load_dwordx2 s[32:33], s[0:1], 0x50                      // 000000002A30: C0060800 00000050
	s_load_dwordx2 s[36:37], s[0:1], 0x60                      // 000000002A38: C0060900 00000060
	s_load_dwordx2 s[12:13], s[0:1], 0x70                      // 000000002A40: C0060300 00000070
	s_load_dwordx2 s[44:45], s[0:1], 0x80                      // 000000002A48: C0060B00 00000080
	s_mov_b32 s89, 0                                           // 000000002A50: BED90080
	s_load_dword s64, s[0:1], 0x90                             // 000000002A54: C0021000 00000090
	s_load_dword s65, s[0:1], 0xa0                             // 000000002A5C: C0021040 000000A0
	s_load_dword s66, s[0:1], 0xb0                             // 000000002A64: C0021080 000000B0
	s_load_dword s67, s[0:1], 0xc0                             // 000000002A6C: C00210C0 000000C0
	s_load_dword s68, s[0:1], 0xd0                             // 000000002A74: C0021100 000000D0
	s_load_dword s69, s[0:1], 0xe0                             // 000000002A7C: C0021140 000000E0
	s_load_dword s71, s[0:1], 0xf0                             // 000000002A84: C00211C0 000000F0
	s_load_dword s72, s[0:1], 0x100                            // 000000002A8C: C0021200 00000100
	s_load_dword s74, s[0:1], 0x110                            // 000000002A94: C0021280 00000110
	s_load_dword s76, s[0:1], 0x120                            // 000000002A9C: C0021300 00000120
	s_load_dword s56, s[0:1], 0x130                            // 000000002AA4: C0020E00 00000130
	s_load_dword s88, s[0:1], 0x140                            // 000000002AAC: C0021600 00000140
	s_load_dword s89, s[0:1], 0x150                            // 000000002AB4: C0021640 00000150
	v_lshrrev_b32_e32 v1, 10, v0                               // 000000002ABC: 2002008A
	v_lshrrev_b32_e32 v2, 10, v1                               // 000000002AC0: 2004028A
	v_and_b32_e32 v2, 0x3ff, v2                                // 000000002AC4: 260404FF 000003FF
	v_and_b32_e32 v1, 0x3ff, v1                                // 000000002ACC: 260202FF 000003FF
	v_and_b32_e32 v0, 0x3ff, v0                                // 000000002AD4: 260000FF 000003FF
	v_lshrrev_b32_e32 v3, 6, v0                                // 000000002ADC: 20060086
	v_and_b32_e32 v0, 63, v0                                   // 000000002AE0: 260000BF
	s_mov_b32 s2, s2                                           // 000000002AE4: BE820002
	s_mov_b32 s3, s3                                           // 000000002AE8: BE830003
	s_mov_b32 s4, s4                                           // 000000002AEC: BE840004
	v_readfirstlane_b32 s7, v3                                 // 000000002AF0: 7E0E0503
	s_waitcnt lgkmcnt(0)                                       // 000000002AF4: BF8CC07F
	s_and_b32 s49, s49, 0xffff                                 // 000000002AF8: 8631FF31 0000FFFF
	s_load_dword s48, s[48:49], 0x0                            // 000000002B00: C0020C18 00000000
	s_and_b32 s45, s45, 0xffff                                 // 000000002B08: 862DFF2D 0000FFFF
	s_and_b32 s9, s9, 0xffff                                   // 000000002B10: 8609FF09 0000FFFF
	s_mul_i32 s60, s66, s68                                    // 000000002B18: 923C4442
	s_mul_i32 s61, s66, 4                                      // 000000002B1C: 923D8442
	s_mov_b32 s22, s60                                         // 000000002B20: BE96003C
	s_mov_b32 s26, -16                                         // 000000002B24: BE9A00D0
	s_mov_b32 s30, s61                                         // 000000002B28: BE9E003D
	s_mov_b32 s14, 0xc0                                        // 000000002B2C: BE8E00FF 000000C0
	s_mov_b32 s38, -16                                         // 000000002B34: BEA600D0
	s_mov_b32 s10, -16                                         // 000000002B38: BE8A00D0
	s_mov_b32 s34, 0x400                                       // 000000002B3C: BEA200FF 00000400
	s_mov_b32 s23, 0x20000                                     // 000000002B44: BE9700FF 00020000
	s_mov_b32 s27, 0x20000                                     // 000000002B4C: BE9B00FF 00020000
	s_mov_b32 s31, 0x20000                                     // 000000002B54: BE9F00FF 00020000
	s_mov_b32 s35, 0x20000                                     // 000000002B5C: BEA300FF 00020000
	s_mov_b32 s15, 0x20000                                     // 000000002B64: BE8F00FF 00020000
	s_mov_b32 s39, 0x20000                                     // 000000002B6C: BEA700FF 00020000
	s_mov_b32 s11, 0x20000                                     // 000000002B74: BE8B00FF 00020000
	s_and_b32 s21, s21, 0xffff                                 // 000000002B7C: 8615FF15 0000FFFF
	s_and_b32 s25, s25, 0xffff                                 // 000000002B84: 8619FF19 0000FFFF
	s_and_b32 s29, s29, 0xffff                                 // 000000002B8C: 861DFF1D 0000FFFF
	s_and_b32 s33, s33, 0xffff                                 // 000000002B94: 8621FF21 0000FFFF
	s_and_b32 s13, s13, 0xffff                                 // 000000002B9C: 860DFF0D 0000FFFF
	s_and_b32 s37, s37, 0xffff                                 // 000000002BA4: 8625FF25 0000FFFF
	s_or_b32 s21, s21, 0x40000                                 // 000000002BAC: 8715FF15 00040000
	s_or_b32 s25, s25, 0x40000                                 // 000000002BB4: 8719FF19 00040000
	s_or_b32 s29, s29, 0x40000                                 // 000000002BBC: 871DFF1D 00040000
	s_or_b32 s33, s33, 0x40000                                 // 000000002BC4: 8721FF21 00040000
	s_or_b32 s13, s13, 0x40000                                 // 000000002BCC: 870DFF0D 00040000
	s_or_b32 s37, s37, 0x40000                                 // 000000002BD4: 8725FF25 00040000
	v_accvgpr_write_b32 a143, 0                                // 000000002BDC: D3D9408F 18000080
	v_mov_b32_e32 v147, 0                                      // 000000002BE4: 7F260280
	s_waitcnt lgkmcnt(0)                                       // 000000002BE8: BF8CC07F
	s_mul_i32 s60, s3, 48                                      // 000000002BEC: 923CB003
	s_cmp_lt_i32 s60, s48                                      // 000000002BF0: BF04303C
	s_cbranch_scc0 label_266E                                  // 000000002BF4: BF8425ED
	s_mov_b32 s80, 0                                           // 000000002BF8: BED00080
	s_lshr_b32 s81, s64, s88                                   // 000000002BFC: 8F515840
	s_mul_i32 s60, s3, 4                                       // 000000002C00: 923C8403
	s_add_u32 s44, s60, s44                                    // 000000002C04: 802C2C3C
	s_addc_u32 s45, 0, s45                                     // 000000002C08: 822D2D80
	s_load_dword s5, s[44:45], 0x0                             // 000000002C0C: C0020156 00000000
	s_mul_i32 s60, s3, 48                                      // 000000002C14: 923CB003
	s_mul_i32 s60, 4, s60                                      // 000000002C18: 923C3C84
	s_add_u32 s12, s60, s12                                    // 000000002C1C: 800C0C3C
	s_addc_u32 s13, 0, s13                                     // 000000002C20: 820D0D80
	v_and_b32_e32 v4, 15, v0                                   // 000000002C24: 2608008F
	v_lshlrev_b32_e32 v4, 2, v4                                // 000000002C28: 24080882
	buffer_load_dword v30, v4, s[12:15], 0 offen               // 000000002C2C: E0501000 80031E04
	v_add_u32_e32 v4, 64, v4                                   // 000000002C34: 680808C0
	buffer_load_dword v31, v4, s[12:15], 0 offen               // 000000002C38: E0501000 80031F04
	v_add_u32_e32 v4, 64, v4                                   // 000000002C40: 680808C0
	buffer_load_dword v32, v4, s[12:15], 0 offen               // 000000002C44: E0501000 80032004
	v_add_u32_e32 v4, 64, v4                                   // 000000002C4C: 680808C0
	s_mul_i32 s60, 4, s7                                       // 000000002C50: 923C0784
	v_lshlrev_b32_e32 v4, 4, v0                                // 000000002C54: 24080084
	v_add_u32_e32 v4, s60, v4                                  // 000000002C58: 6808083C
	buffer_load_dword v3, v4, s[12:15], 0 offen                // 000000002C5C: E0501000 80030304
	v_mov_b32_e32 v52, 0                                       // 000000002C64: 7E680280
	v_mov_b32_e32 v100, 0                                      // 000000002C68: 7EC80280
	v_mov_b32_e32 v53, 0                                       // 000000002C6C: 7E6A0280
	v_mov_b32_e32 v101, 0                                      // 000000002C70: 7ECA0280
	v_mov_b32_e32 v54, 0                                       // 000000002C74: 7E6C0280
	v_mov_b32_e32 v102, 0                                      // 000000002C78: 7ECC0280
	v_mov_b32_e32 v55, 0                                       // 000000002C7C: 7E6E0280
	v_mov_b32_e32 v103, 0                                      // 000000002C80: 7ECE0280
	v_mov_b32_e32 v56, 0                                       // 000000002C84: 7E700280
	v_mov_b32_e32 v104, 0                                      // 000000002C88: 7ED00280
	v_mov_b32_e32 v57, 0                                       // 000000002C8C: 7E720280
	v_mov_b32_e32 v105, 0                                      // 000000002C90: 7ED20280
	v_mov_b32_e32 v58, 0                                       // 000000002C94: 7E740280
	v_mov_b32_e32 v106, 0                                      // 000000002C98: 7ED40280
	v_mov_b32_e32 v59, 0                                       // 000000002C9C: 7E760280
	v_mov_b32_e32 v107, 0                                      // 000000002CA0: 7ED60280
	v_mov_b32_e32 v60, 0                                       // 000000002CA4: 7E780280
	v_mov_b32_e32 v108, 0                                      // 000000002CA8: 7ED80280
	v_mov_b32_e32 v61, 0                                       // 000000002CAC: 7E7A0280
	v_mov_b32_e32 v109, 0                                      // 000000002CB0: 7EDA0280
	v_mov_b32_e32 v62, 0                                       // 000000002CB4: 7E7C0280
	v_mov_b32_e32 v110, 0                                      // 000000002CB8: 7EDC0280
	v_mov_b32_e32 v63, 0                                       // 000000002CBC: 7E7E0280
	v_mov_b32_e32 v111, 0                                      // 000000002CC0: 7EDE0280
	v_mov_b32_e32 v64, 0                                       // 000000002CC4: 7E800280
	v_mov_b32_e32 v112, 0                                      // 000000002CC8: 7EE00280
	v_mov_b32_e32 v65, 0                                       // 000000002CCC: 7E820280
	v_mov_b32_e32 v113, 0                                      // 000000002CD0: 7EE20280
	v_mov_b32_e32 v66, 0                                       // 000000002CD4: 7E840280
	v_mov_b32_e32 v114, 0                                      // 000000002CD8: 7EE40280
	v_mov_b32_e32 v67, 0                                       // 000000002CDC: 7E860280
	v_mov_b32_e32 v115, 0                                      // 000000002CE0: 7EE60280
	v_mov_b32_e32 v68, 0                                       // 000000002CE4: 7E880280
	v_mov_b32_e32 v116, 0                                      // 000000002CE8: 7EE80280
	v_mov_b32_e32 v69, 0                                       // 000000002CEC: 7E8A0280
	v_mov_b32_e32 v117, 0                                      // 000000002CF0: 7EEA0280
	v_mov_b32_e32 v70, 0                                       // 000000002CF4: 7E8C0280
	v_mov_b32_e32 v118, 0                                      // 000000002CF8: 7EEC0280
	v_mov_b32_e32 v71, 0                                       // 000000002CFC: 7E8E0280
	v_mov_b32_e32 v119, 0                                      // 000000002D00: 7EEE0280
	v_mov_b32_e32 v72, 0                                       // 000000002D04: 7E900280
	v_mov_b32_e32 v120, 0                                      // 000000002D08: 7EF00280
	v_mov_b32_e32 v73, 0                                       // 000000002D0C: 7E920280
	v_mov_b32_e32 v121, 0                                      // 000000002D10: 7EF20280
	v_mov_b32_e32 v74, 0                                       // 000000002D14: 7E940280
	v_mov_b32_e32 v122, 0                                      // 000000002D18: 7EF40280
	v_mov_b32_e32 v75, 0                                       // 000000002D1C: 7E960280
	v_mov_b32_e32 v123, 0                                      // 000000002D20: 7EF60280
	v_mov_b32_e32 v76, 0                                       // 000000002D24: 7E980280
	v_mov_b32_e32 v124, 0                                      // 000000002D28: 7EF80280
	v_mov_b32_e32 v77, 0                                       // 000000002D2C: 7E9A0280
	v_mov_b32_e32 v125, 0                                      // 000000002D30: 7EFA0280
	v_mov_b32_e32 v78, 0                                       // 000000002D34: 7E9C0280
	v_mov_b32_e32 v126, 0                                      // 000000002D38: 7EFC0280
	v_mov_b32_e32 v79, 0                                       // 000000002D3C: 7E9E0280
	v_mov_b32_e32 v127, 0                                      // 000000002D40: 7EFE0280
	v_mov_b32_e32 v80, 0                                       // 000000002D44: 7EA00280
	v_mov_b32_e32 v128, 0                                      // 000000002D48: 7F000280
	v_mov_b32_e32 v81, 0                                       // 000000002D4C: 7EA20280
	v_mov_b32_e32 v129, 0                                      // 000000002D50: 7F020280
	v_mov_b32_e32 v82, 0                                       // 000000002D54: 7EA40280
	v_mov_b32_e32 v130, 0                                      // 000000002D58: 7F040280
	v_mov_b32_e32 v83, 0                                       // 000000002D5C: 7EA60280
	v_mov_b32_e32 v131, 0                                      // 000000002D60: 7F060280
	v_mov_b32_e32 v84, 0                                       // 000000002D64: 7EA80280
	v_mov_b32_e32 v132, 0                                      // 000000002D68: 7F080280
	v_mov_b32_e32 v85, 0                                       // 000000002D6C: 7EAA0280
	v_mov_b32_e32 v133, 0                                      // 000000002D70: 7F0A0280
	v_mov_b32_e32 v86, 0                                       // 000000002D74: 7EAC0280
	v_mov_b32_e32 v134, 0                                      // 000000002D78: 7F0C0280
	v_mov_b32_e32 v87, 0                                       // 000000002D7C: 7EAE0280
	v_mov_b32_e32 v135, 0                                      // 000000002D80: 7F0E0280
	v_mov_b32_e32 v88, 0                                       // 000000002D84: 7EB00280
	v_mov_b32_e32 v136, 0                                      // 000000002D88: 7F100280
	v_mov_b32_e32 v89, 0                                       // 000000002D8C: 7EB20280
	v_mov_b32_e32 v137, 0                                      // 000000002D90: 7F120280
	v_mov_b32_e32 v90, 0                                       // 000000002D94: 7EB40280
	v_mov_b32_e32 v138, 0                                      // 000000002D98: 7F140280
	v_mov_b32_e32 v91, 0                                       // 000000002D9C: 7EB60280
	v_mov_b32_e32 v139, 0                                      // 000000002DA0: 7F160280
	v_mov_b32_e32 v92, 0                                       // 000000002DA4: 7EB80280
	v_mov_b32_e32 v140, 0                                      // 000000002DA8: 7F180280
	v_mov_b32_e32 v93, 0                                       // 000000002DAC: 7EBA0280
	v_mov_b32_e32 v141, 0                                      // 000000002DB0: 7F1A0280
	v_mov_b32_e32 v94, 0                                       // 000000002DB4: 7EBC0280
	v_mov_b32_e32 v142, 0                                      // 000000002DB8: 7F1C0280
	v_mov_b32_e32 v95, 0                                       // 000000002DBC: 7EBE0280
	v_mov_b32_e32 v143, 0                                      // 000000002DC0: 7F1E0280
	v_mov_b32_e32 v96, 0                                       // 000000002DC4: 7EC00280
	v_mov_b32_e32 v144, 0                                      // 000000002DC8: 7F200280
	v_mov_b32_e32 v97, 0                                       // 000000002DCC: 7EC20280
	v_mov_b32_e32 v145, 0                                      // 000000002DD0: 7F220280
	v_mov_b32_e32 v98, 0                                       // 000000002DD4: 7EC40280
	v_mov_b32_e32 v146, 0                                      // 000000002DD8: 7F240280
	v_mov_b32_e32 v99, 0                                       // 000000002DDC: 7EC60280
	v_mov_b32_e32 v147, 0                                      // 000000002DE0: 7F260280
	s_mul_i32 s60, s2, 0x200                                   // 000000002DE4: 923CFF02 00000200
	s_cmp_eq_u32 s88, 0                                        // 000000002DEC: BF068058
	s_cselect_b32 s61, 1, 2                                    // 000000002DF0: 853D8281
	s_mul_i32 s60, s60, s61                                    // 000000002DF4: 923C3D3C
	s_mov_b32 s90, s8                                          // 000000002DF8: BEDA0008
	s_mov_b32 s91, s9                                          // 000000002DFC: BEDB0009
	s_add_u32 s8, s60, s8                                      // 000000002E00: 8008083C
	s_addc_u32 s9, 0, s9                                       // 000000002E04: 82090980
	v_lshrrev_b32_e32 v4, 4, v0                                // 000000002E08: 20080084
	v_mul_lo_u32 v20, 34, v4                                   // 000000002E0C: D2850014 000208A2
	v_and_b32_e32 v4, 15, v0                                   // 000000002E14: 2608008F
	v_mul_lo_u32 v5, 2, v4                                     // 000000002E18: D2850005 00020882
	v_add_u32_e32 v20, v5, v20                                 // 000000002E20: 68282905
	s_mul_i32 s60, s7, 0x88                                    // 000000002E24: 923CFF07 00000088
	v_add_u32_e32 v20, s60, v20                                // 000000002E2C: 6828283C
	v_lshlrev_b32_e32 v20, 2, v20                              // 000000002E30: 24282882
	v_and_b32_e32 v4, 31, v0                                   // 000000002E34: 2608009F
	v_lshrrev_b32_e32 v4, 1, v4                                // 000000002E38: 20080881
	v_mul_lo_u32 v21, 34, v4                                   // 000000002E3C: D2850015 000208A2
	v_lshrrev_b32_e32 v4, 5, v0                                // 000000002E44: 20080085
	v_mul_lo_u32 v4, 8, v4                                     // 000000002E48: D2850004 00020888
	v_add_u32_e32 v21, v21, v4                                 // 000000002E50: 682A0915
	v_and_b32_e32 v5, 1, v0                                    // 000000002E54: 260A0081
	v_add_u32_e32 v21, v5, v21                                 // 000000002E58: 682A2B05
	s_mul_i32 s60, s7, 2                                       // 000000002E5C: 923C8207
	v_add_u32_e32 v21, s60, v21                                // 000000002E60: 682A2A3C
	v_lshlrev_b32_e32 v21, 2, v21                              // 000000002E64: 242A2A82
	s_mul_i32 s60, s7, 0x620                                   // 000000002E68: 923CFF07 00000620
	s_add_u32 s48, 0, s60                                      // 000000002E70: 80303C80
	s_add_u32 s49, 0x1880, s48                                 // 000000002E74: 803130FF 00001880
	s_add_u32 s50, 0x1880, s49                                 // 000000002E7C: 803231FF 00001880
	v_lshrrev_b32_e32 v4, 4, v0                                // 000000002E84: 20080084
	v_lshlrev_b32_e32 v5, 2, v4                                // 000000002E88: 240A0882
	v_and_b32_e32 v4, 15, v0                                   // 000000002E8C: 2608008F
	v_lshrrev_b32_e32 v6, 2, v4                                // 000000002E90: 200C0882
	v_lshlrev_b32_e32 v6, 5, v6                                // 000000002E94: 240C0C85
	v_add_u32_e32 v5, v6, v5                                   // 000000002E98: 680A0B06
	v_and_b32_e32 v4, 3, v0                                    // 000000002E9C: 26080083
	v_mul_u32_u24_e32 v6, 0x188, v4                            // 000000002EA0: 100C08FF 00000188
	v_add_u32_e32 v5, v6, v5                                   // 000000002EA8: 680A0B06
	v_lshlrev_b32_e32 v2, 2, v5                                // 000000002EAC: 24040A82
	s_waitcnt lgkmcnt(0)                                       // 000000002EB0: BF8CC07F
	s_mul_i32 s60, s2, 0x100                                   // 000000002EB4: 923CFF02 00000100
	s_mul_i32 s60, s60, s69                                    // 000000002EBC: 923C453C
	s_mul_i32 s61, s5, s72                                     // 000000002EC0: 923D4805
	s_add_u32 s60, s61, s60                                    // 000000002EC4: 803C3C3D
	s_add_u32 s24, s60, s24                                    // 000000002EC8: 8018183C
	s_addc_u32 s25, 0, s25                                     // 000000002ECC: 82191980
	s_lshr_b32 s60, s64, s88                                   // 000000002ED0: 8F3C5840
	s_mul_i32 s60, s4, s60                                     // 000000002ED4: 923C3C04
	s_lshr_b32 s60, s60, 7                                     // 000000002ED8: 8F3C873C
	s_mul_i32 s60, s60, 0x800                                  // 000000002EDC: 923CFF3C 00000800
	s_add_u32 s24, s60, s24                                    // 000000002EE4: 8018183C
	s_addc_u32 s25, 0, s25                                     // 000000002EE8: 82191980
	s_lshr_b32 s60, s69, s88                                   // 000000002EEC: 8F3C5845
	s_mul_i32 s60, s4, s60                                     // 000000002EF0: 923C3C04
	s_add_u32 s20, s60, s20                                    // 000000002EF4: 8014143C
	s_addc_u32 s21, 0, s21                                     // 000000002EF8: 82151580
	s_mul_i32 s60, s7, 16                                      // 000000002EFC: 923C9007
	s_mul_i32 s60, s60, s69                                    // 000000002F00: 923C453C
	v_lshlrev_b32_e32 v48, 4, v0                               // 000000002F04: 24600084
	v_add_u32_e32 v48, s60, v48                                // 000000002F08: 6860603C
	s_mul_i32 s60, 64, s69                                     // 000000002F0C: 923C45C0
	v_add_u32_e32 v49, s60, v48                                // 000000002F10: 6862603C
	v_add_u32_e32 v50, s60, v49                                // 000000002F14: 6864623C
	v_add_u32_e32 v51, s60, v50                                // 000000002F18: 6866643C
	s_mov_b32 s84, s24                                         // 000000002F1C: BED40018
	s_mov_b32 s85, s25                                         // 000000002F20: BED50019
	s_mov_b32 s86, s26                                         // 000000002F24: BED6001A
	s_mov_b32 s87, s27                                         // 000000002F28: BED7001B
	s_mul_i32 s60, s69, s65                                    // 000000002F2C: 923C4145
	s_add_u32 s84, s60, s84                                    // 000000002F30: 8054543C
	s_addc_u32 s85, 0, s85                                     // 000000002F34: 82555580
	v_lshrrev_b32_e32 v4, 4, v0                                // 000000002F38: 20080084
	v_lshlrev_b32_e32 v5, 2, v4                                // 000000002F3C: 240A0882
	v_and_b32_e32 v4, 15, v0                                   // 000000002F40: 2608008F
	v_lshrrev_b32_e32 v6, 2, v4                                // 000000002F44: 200C0882
	v_lshlrev_b32_e32 v6, 6, v6                                // 000000002F48: 240C0C86
	v_add_u32_e32 v5, v6, v5                                   // 000000002F4C: 680A0B06
	v_and_b32_e32 v4, 3, v0                                    // 000000002F50: 26080083
	v_add_u32_e32 v5, v4, v5                                   // 000000002F54: 680A0B04
	v_lshlrev_b32_e32 v22, 2, v5                               // 000000002F58: 242C0A82
	s_mul_i32 s60, s7, 16                                      // 000000002F5C: 923C9007
	s_mul_i32 s60, s60, 4                                      // 000000002F60: 923C843C
	v_add_u32_e32 v22, s60, v22                                // 000000002F64: 682C2C3C
	s_mul_i32 s60, s2, 0x100                                   // 000000002F68: 923CFF02 00000100
	s_mul_i32 s60, s60, 4                                      // 000000002F70: 923C843C
	s_mul_i32 s61, s5, s74                                     // 000000002F74: 923D4A05
	s_add_u32 s61, s61, s60                                    // 000000002F78: 803D3C3D
	s_add_u32 s32, s61, s32                                    // 000000002F7C: 8020203D
	s_addc_u32 s33, 0, s33                                     // 000000002F80: 82212180
	s_mov_b32 s57, 0x80                                        // 000000002F84: BEB900FF 00000080
	s_mov_b32 s58, 0x800                                       // 000000002F8C: BEBA00FF 00000800
	s_mov_b32 s83, s58                                         // 000000002F94: BED3003A
	s_mov_b32 s52, 0x7060302                                   // 000000002F98: BEB400FF 07060302
	s_mov_b32 s53, 0x400                                       // 000000002FA0: BEB500FF 00000400
	s_mov_b32 s54, 0x40100                                     // 000000002FA8: BEB600FF 00040100
	s_mov_b32 s55, 0x4020100                                   // 000000002FB0: BEB700FF 04020100
	s_mov_b32 s6, 0x3fb8aa3b                                   // 000000002FB8: BE8600FF 3FB8AA3B
	s_mov_b32 s78, 0xbd92220c                                  // 000000002FC0: BECE00FF BD92220C
	s_mov_b32 s79, 0xbd92220c                                  // 000000002FC8: BECF00FF BD92220C
	s_mov_b32 m0, s48                                          // 000000002FD0: BEFC0030
	v_mov_b32_e32 v1, 0xbfcc4231                               // 000000002FD4: 7E0202FF BFCC4231
	v_mov_b32_e32 v17, 0xffff0000                              // 000000002FDC: 7E2202FF FFFF0000
	v_mov_b32_e32 v18, 0x7fff0000                              // 000000002FE4: 7E2402FF 7FFF0000
	v_mov_b32_e32 v19, 0x7fff                                  // 000000002FEC: 7E2602FF 00007FFF
	s_waitcnt vmcnt(0) expcnt(0) lgkmcnt(0)                    // 000000002FF4: BF8C0000
	v_lshrrev_b32_e32 v4, 5, v0                                // 000000002FF8: 20080085
	v_xor_b32_e32 v5, 1, v4                                    // 000000002FFC: 2A0A0881
	v_readlane_b32 s82, v3, 0                                  // 000000003000: D2890052 00010103
	s_and_b32 s82, s82, 0xffffff                               // 000000003008: 8652FF52 00FFFFFF
	v_mul_lo_u32 v6, v5, s82                                   // 000000003010: D2850006 0000A505
	v_readlane_b32 s82, v3, 1                                  // 000000003018: D2890052 00010303
	s_and_b32 s82, s82, 0xffffff                               // 000000003020: 8652FF52 00FFFFFF
	v_mul_lo_u32 v7, v4, s82                                   // 000000003028: D2850007 0000A504
	v_add_u32_e32 v42, v6, v7                                  // 000000003030: 68540F06
	v_mul_lo_u32 v42, v42, s68                                 // 000000003034: D285002A 0000892A
	v_readlane_b32 s82, v3, 2                                  // 00000000303C: D2890052 00010503
	s_and_b32 s82, s82, 0xffffff                               // 000000003044: 8652FF52 00FFFFFF
	v_mul_lo_u32 v6, v5, s82                                   // 00000000304C: D2850006 0000A505
	v_readlane_b32 s82, v3, 3                                  // 000000003054: D2890052 00010703
	s_and_b32 s82, s82, 0xffffff                               // 00000000305C: 8652FF52 00FFFFFF
	v_mul_lo_u32 v7, v4, s82                                   // 000000003064: D2850007 0000A504
	v_add_u32_e32 v43, v6, v7                                  // 00000000306C: 68560F06
	v_mul_lo_u32 v43, v43, s68                                 // 000000003070: D285002B 0000892B
	v_readlane_b32 s82, v3, 4                                  // 000000003078: D2890052 00010903
	s_and_b32 s82, s82, 0xffffff                               // 000000003080: 8652FF52 00FFFFFF
	v_mul_lo_u32 v6, v5, s82                                   // 000000003088: D2850006 0000A505
	v_readlane_b32 s82, v3, 5                                  // 000000003090: D2890052 00010B03
	s_and_b32 s82, s82, 0xffffff                               // 000000003098: 8652FF52 00FFFFFF
	v_mul_lo_u32 v7, v4, s82                                   // 0000000030A0: D2850007 0000A504
	v_add_u32_e32 v44, v6, v7                                  // 0000000030A8: 68580F06
	v_mul_lo_u32 v44, v44, s68                                 // 0000000030AC: D285002C 0000892C
	v_readlane_b32 s82, v3, 6                                  // 0000000030B4: D2890052 00010D03
	s_and_b32 s82, s82, 0xffffff                               // 0000000030BC: 8652FF52 00FFFFFF
	v_mul_lo_u32 v6, v5, s82                                   // 0000000030C4: D2850006 0000A505
	v_readlane_b32 s82, v3, 7                                  // 0000000030CC: D2890052 00010F03
	s_and_b32 s82, s82, 0xffffff                               // 0000000030D4: 8652FF52 00FFFFFF
	v_mul_lo_u32 v7, v4, s82                                   // 0000000030DC: D2850007 0000A504
	v_add_u32_e32 v45, v6, v7                                  // 0000000030E4: 685A0F06
	v_mul_lo_u32 v45, v45, s68                                 // 0000000030E8: D285002D 0000892D
	v_readlane_b32 s82, v3, 8                                  // 0000000030F0: D2890052 00011103
	s_and_b32 s82, s82, 0xffffff                               // 0000000030F8: 8652FF52 00FFFFFF
	v_mul_lo_u32 v6, v5, s82                                   // 000000003100: D2850006 0000A505
	v_readlane_b32 s82, v3, 9                                  // 000000003108: D2890052 00011303
	s_and_b32 s82, s82, 0xffffff                               // 000000003110: 8652FF52 00FFFFFF
	v_mul_lo_u32 v7, v4, s82                                   // 000000003118: D2850007 0000A504
	v_add_u32_e32 v46, v6, v7                                  // 000000003120: 685C0F06
	v_mul_lo_u32 v46, v46, s68                                 // 000000003124: D285002E 0000892E
	v_readlane_b32 s82, v3, 10                                 // 00000000312C: D2890052 00011503
	s_and_b32 s82, s82, 0xffffff                               // 000000003134: 8652FF52 00FFFFFF
	v_mul_lo_u32 v6, v5, s82                                   // 00000000313C: D2850006 0000A505
	v_readlane_b32 s82, v3, 11                                 // 000000003144: D2890052 00011703
	s_and_b32 s82, s82, 0xffffff                               // 00000000314C: 8652FF52 00FFFFFF
	v_mul_lo_u32 v7, v4, s82                                   // 000000003154: D2850007 0000A504
	v_add_u32_e32 v47, v6, v7                                  // 00000000315C: 685E0F06
	v_mul_lo_u32 v47, v47, s68                                 // 000000003160: D285002F 0000892F
	v_and_b32_e32 v4, 31, v0                                   // 000000003168: 2608009F
	v_lshlrev_b32_e32 v4, 2, v4                                // 00000000316C: 24080882
	v_add_u32_e32 v42, v42, v4                                 // 000000003170: 6854092A
	v_add_u32_e32 v43, v43, v4                                 // 000000003174: 6856092B
	v_add_u32_e32 v44, v44, v4                                 // 000000003178: 6858092C
	v_add_u32_e32 v45, v45, v4                                 // 00000000317C: 685A092D
	v_add_u32_e32 v46, v46, v4                                 // 000000003180: 685C092E
	v_add_u32_e32 v47, v47, v4                                 // 000000003184: 685E092F
	v_and_b32_e32 v30, 0xffffff, v30                           // 000000003188: 263C3CFF 00FFFFFF
	v_lshlrev_b32_e32 v30, 2, v30                              // 000000003190: 243C3C82
	v_and_b32_e32 v31, 0xffffff, v31                           // 000000003194: 263E3EFF 00FFFFFF
	v_lshlrev_b32_e32 v31, 2, v31                              // 00000000319C: 243E3E82
	v_and_b32_e32 v32, 0xffffff, v32                           // 0000000031A0: 264040FF 00FFFFFF
	v_lshlrev_b32_e32 v32, 2, v32                              // 0000000031A8: 24404082
	s_lshl_b32 s3, s66, 2                                      // 0000000031AC: 8E038242
	buffer_load_dword v33, v30, s[28:31], 0 offen              // 0000000031B0: E0501000 8007211E
	buffer_load_dword v34, v31, s[28:31], 0 offen              // 0000000031B8: E0501000 8007221F
	buffer_load_dword v35, v32, s[28:31], 0 offen              // 0000000031C0: E0501000 80072320
	buffer_load_dword v24, v22, s[32:35], 0 offen              // 0000000031C8: E0501000 80081816
	s_mul_i32 s60, 4, s65                                      // 0000000031D0: 923C4184
	s_add_u32 s32, s60, s32                                    // 0000000031D4: 8020203C
	s_addc_u32 s33, 0, s33                                     // 0000000031D8: 82212180
	buffer_load_dword v27, v22, s[32:35], 0 offen              // 0000000031DC: E0501000 80081B16
	buffer_load_dword v42, s[20:23], 0 offen lds               // 0000000031E4: E0511000 8005002A
	s_add_u32 m0, 0x100, s48                                   // 0000000031EC: 807C30FF 00000100
	buffer_load_dword v43, s[20:23], 0 offen lds               // 0000000031F4: E0511000 8005002B
	s_add_u32 m0, 0x200, s48                                   // 0000000031FC: 807C30FF 00000200
	buffer_load_dword v44, s[20:23], 0 offen lds               // 000000003204: E0511000 8005002C
	s_add_u32 m0, 0x300, s48                                   // 00000000320C: 807C30FF 00000300
	buffer_load_dword v45, s[20:23], 0 offen lds               // 000000003214: E0511000 8005002D
	s_add_u32 m0, 0x400, s48                                   // 00000000321C: 807C30FF 00000400
	buffer_load_dword v46, s[20:23], 0 offen lds               // 000000003224: E0511000 8005002E
	s_add_u32 m0, 0x500, s48                                   // 00000000322C: 807C30FF 00000500
	buffer_load_dword v47, s[20:23], 0 offen lds               // 000000003234: E0511000 8005002F
	s_add_u32 m0, 0, s49                                       // 00000000323C: 807C3180
	s_add_u32 s20, s57, s20                                    // 000000003240: 80141439
	s_addc_u32 s21, 0, s21                                     // 000000003244: 82151580
	buffer_load_dwordx4 a[48:51], v48, s[24:27], 0 offen       // 000000003248: E05C1000 80863030
	buffer_load_dwordx4 a[52:55], v48, s[24:27], 0 offen offset:1024// 000000003250: E05C1400 80863430
	buffer_load_dwordx4 a[56:59], v49, s[24:27], 0 offen       // 000000003258: E05C1000 80863831
	buffer_load_dwordx4 a[60:63], v49, s[24:27], 0 offen offset:1024// 000000003260: E05C1400 80863C31
	buffer_load_dwordx4 a[64:67], v50, s[24:27], 0 offen       // 000000003268: E05C1000 80864032
	buffer_load_dwordx4 a[68:71], v50, s[24:27], 0 offen offset:1024// 000000003270: E05C1400 80864432
	buffer_load_dwordx4 a[72:75], v51, s[24:27], 0 offen       // 000000003278: E05C1000 80864833
	buffer_load_dwordx4 a[76:79], v51, s[24:27], 0 offen offset:1024// 000000003280: E05C1400 80864C33
	s_add_u32 s24, s58, s24                                    // 000000003288: 8018183A
	s_addc_u32 s25, 0, s25                                     // 00000000328C: 82191980
	buffer_load_dword v42, s[20:23], 0 offen lds               // 000000003290: E0511000 8005002A
	s_add_u32 m0, 0x100, s49                                   // 000000003298: 807C31FF 00000100
	buffer_load_dword v43, s[20:23], 0 offen lds               // 0000000032A0: E0511000 8005002B
	s_add_u32 m0, 0x200, s49                                   // 0000000032A8: 807C31FF 00000200
	buffer_load_dword v44, s[20:23], 0 offen lds               // 0000000032B0: E0511000 8005002C
	s_add_u32 m0, 0x300, s49                                   // 0000000032B8: 807C31FF 00000300
	buffer_load_dword v45, s[20:23], 0 offen lds               // 0000000032C0: E0511000 8005002D
	s_add_u32 m0, 0x400, s49                                   // 0000000032C8: 807C31FF 00000400
	buffer_load_dword v46, s[20:23], 0 offen lds               // 0000000032D0: E0511000 8005002E
	s_add_u32 m0, 0x500, s49                                   // 0000000032D8: 807C31FF 00000500
	buffer_load_dword v47, s[20:23], 0 offen lds               // 0000000032E0: E0511000 8005002F
	s_add_u32 m0, 0, s50                                       // 0000000032E8: 807C3280
	s_add_u32 s20, s57, s20                                    // 0000000032EC: 80141439
	s_addc_u32 s21, 0, s21                                     // 0000000032F0: 82151580
	buffer_load_dwordx4 a[80:83], v48, s[84:87], 0 offen       // 0000000032F4: E05C1000 80955030
	buffer_load_dwordx4 a[84:87], v48, s[84:87], 0 offen offset:1024// 0000000032FC: E05C1400 80955430
	buffer_load_dwordx4 a[88:91], v49, s[84:87], 0 offen       // 000000003304: E05C1000 80955831
	buffer_load_dwordx4 a[92:95], v49, s[84:87], 0 offen offset:1024// 00000000330C: E05C1400 80955C31
	buffer_load_dwordx4 a[96:99], v50, s[84:87], 0 offen       // 000000003314: E05C1000 80956032
	buffer_load_dwordx4 a[100:103], v50, s[84:87], 0 offen offset:1024// 00000000331C: E05C1400 80956432
	buffer_load_dwordx4 a[104:107], v51, s[84:87], 0 offen     // 000000003324: E05C1000 80956833
	buffer_load_dwordx4 a[108:111], v51, s[84:87], 0 offen offset:1024// 00000000332C: E05C1400 80956C33
	s_add_u32 s84, s83, s84                                    // 000000003334: 80545453
	s_addc_u32 s85, 0, s85                                     // 000000003338: 82555580
	s_waitcnt vmcnt(22)                                        // 00000000333C: BF8C4F76
	s_barrier                                                  // 000000003340: BF8A0000
	ds_read_b128 a[0:3], v2                                    // 000000003344: DBFE0000 00000002
	ds_read_b128 a[4:7], v2 offset:64                          // 00000000334C: DBFE0040 04000002
	ds_read_b128 a[8:11], v2 offset:512                        // 000000003354: DBFE0200 08000002
	ds_read_b128 a[12:15], v2 offset:576                       // 00000000335C: DBFE0240 0C000002
	ds_read_b128 a[16:19], v2 offset:1024                      // 000000003364: DBFE0400 10000002
	ds_read_b128 a[20:23], v2 offset:1088                      // 00000000336C: DBFE0440 14000002
	s_cmp_lt_i32 s7, 2                                         // 000000003374: BF048207
	s_cbranch_scc0 label_1468                                  // 000000003378: BF841206

000000000000337c <label_025F>:
	s_waitcnt vmcnt(14) lgkmcnt(0)                             // 00000000337C: BF8C007E
	v_mfma_f32_16x16x32_fp8_fp8 v[52:55], a[48:49], a[0:1], v[52:55]// 000000003380: D3F30034 1CD20130
	v_mfma_f32_16x16x32_fp8_fp8 v[52:55], a[50:51], a[2:3], v[52:55]// 000000003388: D3F30034 1CD20532
	buffer_load_dwordx4 a[112:115], v48, s[24:27], 0 offen     // 000000003390: E05C1000 80867030
	v_mfma_f32_16x16x32_fp8_fp8 v[52:55], a[52:53], a[4:5], v[52:55]// 000000003398: D3F30034 1CD20934
	v_mfma_f32_16x16x32_fp8_fp8 v[52:55], a[54:55], a[6:7], v[52:55]// 0000000033A0: D3F30034 1CD20D36
	v_mfma_f32_16x16x32_fp8_fp8 v[64:67], a[56:57], a[0:1], v[64:67]// 0000000033A8: D3F30040 1D020138
	v_mfma_f32_16x16x32_fp8_fp8 v[64:67], a[58:59], a[2:3], v[64:67]// 0000000033B0: D3F30040 1D02053A
	buffer_load_dwordx4 a[116:119], v48, s[24:27], 0 offen offset:1024// 0000000033B8: E05C1400 80867430
	v_mfma_f32_16x16x32_fp8_fp8 v[64:67], a[60:61], a[4:5], v[64:67]// 0000000033C0: D3F30040 1D02093C
	v_mfma_f32_16x16x32_fp8_fp8 v[64:67], a[62:63], a[6:7], v[64:67]// 0000000033C8: D3F30040 1D020D3E
	v_mfma_f32_16x16x32_fp8_fp8 v[76:79], a[64:65], a[0:1], v[76:79]// 0000000033D0: D3F3004C 1D320140
	v_mfma_f32_16x16x32_fp8_fp8 v[76:79], a[66:67], a[2:3], v[76:79]// 0000000033D8: D3F3004C 1D320542
	buffer_load_dwordx4 a[120:123], v49, s[24:27], 0 offen     // 0000000033E0: E05C1000 80867831
	v_mfma_f32_16x16x32_fp8_fp8 v[76:79], a[68:69], a[4:5], v[76:79]// 0000000033E8: D3F3004C 1D320944
	v_mfma_f32_16x16x32_fp8_fp8 v[76:79], a[70:71], a[6:7], v[76:79]// 0000000033F0: D3F3004C 1D320D46
	v_mfma_f32_16x16x32_fp8_fp8 v[88:91], a[72:73], a[0:1], v[88:91]// 0000000033F8: D3F30058 1D620148
	v_mfma_f32_16x16x32_fp8_fp8 v[88:91], a[74:75], a[2:3], v[88:91]// 000000003400: D3F30058 1D62054A
	buffer_load_dwordx4 a[124:127], v49, s[24:27], 0 offen offset:1024// 000000003408: E05C1400 80867C31
	v_mfma_f32_16x16x32_fp8_fp8 v[88:91], a[76:77], a[4:5], v[88:91]// 000000003410: D3F30058 1D62094C
	v_mfma_f32_16x16x32_fp8_fp8 v[88:91], a[78:79], a[6:7], v[88:91]// 000000003418: D3F30058 1D620D4E
	v_mfma_f32_16x16x32_fp8_fp8 v[56:59], a[48:49], a[8:9], v[56:59]// 000000003420: D3F30038 1CE21130
	v_mfma_f32_16x16x32_fp8_fp8 v[56:59], a[50:51], a[10:11], v[56:59]// 000000003428: D3F30038 1CE21532
	buffer_load_dwordx4 a[128:131], v50, s[24:27], 0 offen     // 000000003430: E05C1000 80868032
	v_mfma_f32_16x16x32_fp8_fp8 v[56:59], a[52:53], a[12:13], v[56:59]// 000000003438: D3F30038 1CE21934
	v_mfma_f32_16x16x32_fp8_fp8 v[56:59], a[54:55], a[14:15], v[56:59]// 000000003440: D3F30038 1CE21D36
	v_mfma_f32_16x16x32_fp8_fp8 v[68:71], a[56:57], a[8:9], v[68:71]// 000000003448: D3F30044 1D121138
	v_mfma_f32_16x16x32_fp8_fp8 v[68:71], a[58:59], a[10:11], v[68:71]// 000000003450: D3F30044 1D12153A
	buffer_load_dwordx4 a[132:135], v50, s[24:27], 0 offen offset:1024// 000000003458: E05C1400 80868432
	v_mfma_f32_16x16x32_fp8_fp8 v[68:71], a[60:61], a[12:13], v[68:71]// 000000003460: D3F30044 1D12193C
	v_mfma_f32_16x16x32_fp8_fp8 v[68:71], a[62:63], a[14:15], v[68:71]// 000000003468: D3F30044 1D121D3E
	v_mfma_f32_16x16x32_fp8_fp8 v[80:83], a[64:65], a[8:9], v[80:83]// 000000003470: D3F30050 1D421140
	v_mfma_f32_16x16x32_fp8_fp8 v[80:83], a[66:67], a[10:11], v[80:83]// 000000003478: D3F30050 1D421542
	buffer_load_dwordx4 a[136:139], v51, s[24:27], 0 offen     // 000000003480: E05C1000 80868833
	v_mfma_f32_16x16x32_fp8_fp8 v[80:83], a[68:69], a[12:13], v[80:83]// 000000003488: D3F30050 1D421944
	v_mfma_f32_16x16x32_fp8_fp8 v[80:83], a[70:71], a[14:15], v[80:83]// 000000003490: D3F30050 1D421D46
	v_mfma_f32_16x16x32_fp8_fp8 v[92:95], a[72:73], a[8:9], v[92:95]// 000000003498: D3F3005C 1D721148
	v_mfma_f32_16x16x32_fp8_fp8 v[92:95], a[74:75], a[10:11], v[92:95]// 0000000034A0: D3F3005C 1D72154A
	buffer_load_dwordx4 a[140:143], v51, s[24:27], 0 offen offset:1024// 0000000034A8: E05C1400 80868C33
	buffer_load_dword v42, s[20:23], 0 offen lds               // 0000000034B0: E0511000 8005002A
	s_add_u32 m0, 0x100, s50                                   // 0000000034B8: 807C32FF 00000100
	v_mfma_f32_16x16x32_fp8_fp8 v[92:95], a[76:77], a[12:13], v[92:95]// 0000000034C0: D3F3005C 1D72194C
	v_mfma_f32_16x16x32_fp8_fp8 v[92:95], a[78:79], a[14:15], v[92:95]// 0000000034C8: D3F3005C 1D721D4E
	buffer_load_dword v43, s[20:23], 0 offen lds               // 0000000034D0: E0511000 8005002B
	s_add_u32 m0, 0x200, s50                                   // 0000000034D8: 807C32FF 00000200
	v_mfma_f32_16x16x32_fp8_fp8 v[60:63], a[48:49], a[16:17], v[60:63]// 0000000034E0: D3F3003C 1CF22130
	v_mfma_f32_16x16x32_fp8_fp8 v[60:63], a[50:51], a[18:19], v[60:63]// 0000000034E8: D3F3003C 1CF22532
	buffer_load_dword v44, s[20:23], 0 offen lds               // 0000000034F0: E0511000 8005002C
	s_add_u32 m0, 0x300, s50                                   // 0000000034F8: 807C32FF 00000300
	v_mfma_f32_16x16x32_fp8_fp8 v[60:63], a[52:53], a[20:21], v[60:63]// 000000003500: D3F3003C 1CF22934
	v_mfma_f32_16x16x32_fp8_fp8 v[60:63], a[54:55], a[22:23], v[60:63]// 000000003508: D3F3003C 1CF22D36
	buffer_load_dword v45, s[20:23], 0 offen lds               // 000000003510: E0511000 8005002D
	s_add_u32 m0, 0x400, s50                                   // 000000003518: 807C32FF 00000400
	v_mfma_f32_16x16x32_fp8_fp8 v[72:75], a[56:57], a[16:17], v[72:75]// 000000003520: D3F30048 1D222138
	v_mfma_f32_16x16x32_fp8_fp8 v[72:75], a[58:59], a[18:19], v[72:75]// 000000003528: D3F30048 1D22253A
	buffer_load_dword v46, s[20:23], 0 offen lds               // 000000003530: E0511000 8005002E
	s_add_u32 m0, 0x500, s50                                   // 000000003538: 807C32FF 00000500
	v_mfma_f32_16x16x32_fp8_fp8 v[72:75], a[60:61], a[20:21], v[72:75]// 000000003540: D3F30048 1D22293C
	v_mfma_f32_16x16x32_fp8_fp8 v[72:75], a[62:63], a[22:23], v[72:75]// 000000003548: D3F30048 1D222D3E
	buffer_load_dword v47, s[20:23], 0 offen lds               // 000000003550: E0511000 8005002F
	s_add_u32 m0, 0, s48                                       // 000000003558: 807C3080
	v_mfma_f32_16x16x32_fp8_fp8 v[84:87], a[64:65], a[16:17], v[84:87]// 00000000355C: D3F30054 1D522140
	v_mfma_f32_16x16x32_fp8_fp8 v[84:87], a[66:67], a[18:19], v[84:87]// 000000003564: D3F30054 1D522542
	v_mfma_f32_16x16x32_fp8_fp8 v[84:87], a[68:69], a[20:21], v[84:87]// 00000000356C: D3F30054 1D522944
	v_mfma_f32_16x16x32_fp8_fp8 v[84:87], a[70:71], a[22:23], v[84:87]// 000000003574: D3F30054 1D522D46
	v_mfma_f32_16x16x32_fp8_fp8 v[96:99], a[72:73], a[16:17], v[96:99]// 00000000357C: D3F30060 1D822148
	v_mfma_f32_16x16x32_fp8_fp8 v[96:99], a[74:75], a[18:19], v[96:99]// 000000003584: D3F30060 1D82254A
	v_mfma_f32_16x16x32_fp8_fp8 v[96:99], a[76:77], a[20:21], v[96:99]// 00000000358C: D3F30060 1D82294C
	v_mfma_f32_16x16x32_fp8_fp8 v[96:99], a[78:79], a[22:23], v[96:99]// 000000003594: D3F30060 1D822D4E
	s_waitcnt vmcnt(14)                                        // 00000000359C: BF8C0F7E
	s_barrier                                                  // 0000000035A0: BF8A0000
	v_mfma_f32_16x16x32_fp8_fp8 v[100:103], a[80:81], a[0:1], v[100:103]// 0000000035A4: D3F30064 1D920150
	v_mfma_f32_16x16x32_fp8_fp8 v[100:103], a[82:83], a[2:3], v[100:103]// 0000000035AC: D3F30064 1D920552
	buffer_load_dwordx4 a[48:51], v48, s[84:87], 0 offen       // 0000000035B4: E05C1000 80953030
	v_mfma_f32_16x16x32_fp8_fp8 v[100:103], a[84:85], a[4:5], v[100:103]// 0000000035BC: D3F30064 1D920954
	v_mfma_f32_16x16x32_fp8_fp8 v[100:103], a[86:87], a[6:7], v[100:103]// 0000000035C4: D3F30064 1D920D56
	ds_read_b128 a[24:27], v2 offset:6272                      // 0000000035CC: DBFE1880 18000002
	ds_read_b128 a[28:31], v2 offset:6336                      // 0000000035D4: DBFE18C0 1C000002
	v_mfma_f32_16x16x32_fp8_fp8 v[112:115], a[88:89], a[0:1], v[112:115]// 0000000035DC: D3F30070 1DC20158
	v_mfma_f32_16x16x32_fp8_fp8 v[112:115], a[90:91], a[2:3], v[112:115]// 0000000035E4: D3F30070 1DC2055A
	buffer_load_dwordx4 a[52:55], v48, s[84:87], 0 offen offset:1024// 0000000035EC: E05C1400 80953430
	v_mfma_f32_16x16x32_fp8_fp8 v[112:115], a[92:93], a[4:5], v[112:115]// 0000000035F4: D3F30070 1DC2095C
	v_mfma_f32_16x16x32_fp8_fp8 v[112:115], a[94:95], a[6:7], v[112:115]// 0000000035FC: D3F30070 1DC20D5E
	ds_read_b128 a[32:35], v2 offset:6784                      // 000000003604: DBFE1A80 20000002
	ds_read_b128 a[36:39], v2 offset:6848                      // 00000000360C: DBFE1AC0 24000002
	v_mfma_f32_16x16x32_fp8_fp8 v[124:127], a[96:97], a[0:1], v[124:127]// 000000003614: D3F3007C 1DF20160
	v_mfma_f32_16x16x32_fp8_fp8 v[124:127], a[98:99], a[2:3], v[124:127]// 00000000361C: D3F3007C 1DF20562
	buffer_load_dwordx4 a[56:59], v49, s[84:87], 0 offen       // 000000003624: E05C1000 80953831
	v_mfma_f32_16x16x32_fp8_fp8 v[124:127], a[100:101], a[4:5], v[124:127]// 00000000362C: D3F3007C 1DF20964
	v_mfma_f32_16x16x32_fp8_fp8 v[124:127], a[102:103], a[6:7], v[124:127]// 000000003634: D3F3007C 1DF20D66
	ds_read_b128 a[40:43], v2 offset:7296                      // 00000000363C: DBFE1C80 28000002
	ds_read_b128 a[44:47], v2 offset:7360                      // 000000003644: DBFE1CC0 2C000002
	v_mfma_f32_16x16x32_fp8_fp8 v[136:139], a[104:105], a[0:1], v[136:139]// 00000000364C: D3F30088 1E220168
	v_mfma_f32_16x16x32_fp8_fp8 v[136:139], a[106:107], a[2:3], v[136:139]// 000000003654: D3F30088 1E22056A
	buffer_load_dwordx4 a[60:63], v49, s[84:87], 0 offen offset:1024// 00000000365C: E05C1400 80953C31
	v_mfma_f32_16x16x32_fp8_fp8 v[136:139], a[108:109], a[4:5], v[136:139]// 000000003664: D3F30088 1E22096C
	v_mfma_f32_16x16x32_fp8_fp8 v[136:139], a[110:111], a[6:7], v[136:139]// 00000000366C: D3F30088 1E220D6E
	v_mfma_f32_16x16x32_fp8_fp8 v[104:107], a[80:81], a[8:9], v[104:107]// 000000003674: D3F30068 1DA21150
	v_mfma_f32_16x16x32_fp8_fp8 v[104:107], a[82:83], a[10:11], v[104:107]// 00000000367C: D3F30068 1DA21552
	buffer_load_dwordx4 a[64:67], v50, s[84:87], 0 offen       // 000000003684: E05C1000 80954032
	v_mfma_f32_16x16x32_fp8_fp8 v[104:107], a[84:85], a[12:13], v[104:107]// 00000000368C: D3F30068 1DA21954
	v_mfma_f32_16x16x32_fp8_fp8 v[104:107], a[86:87], a[14:15], v[104:107]// 000000003694: D3F30068 1DA21D56
	v_mfma_f32_16x16x32_fp8_fp8 v[116:119], a[88:89], a[8:9], v[116:119]// 00000000369C: D3F30074 1DD21158
	v_mfma_f32_16x16x32_fp8_fp8 v[116:119], a[90:91], a[10:11], v[116:119]// 0000000036A4: D3F30074 1DD2155A
	buffer_load_dwordx4 a[68:71], v50, s[84:87], 0 offen offset:1024// 0000000036AC: E05C1400 80954432
	v_mfma_f32_16x16x32_fp8_fp8 v[116:119], a[92:93], a[12:13], v[116:119]// 0000000036B4: D3F30074 1DD2195C
	v_mfma_f32_16x16x32_fp8_fp8 v[116:119], a[94:95], a[14:15], v[116:119]// 0000000036BC: D3F30074 1DD21D5E
	v_mfma_f32_16x16x32_fp8_fp8 v[128:131], a[96:97], a[8:9], v[128:131]// 0000000036C4: D3F30080 1E021160
	v_mfma_f32_16x16x32_fp8_fp8 v[128:131], a[98:99], a[10:11], v[128:131]// 0000000036CC: D3F30080 1E021562
	buffer_load_dwordx4 a[72:75], v51, s[84:87], 0 offen       // 0000000036D4: E05C1000 80954833
	v_mfma_f32_16x16x32_fp8_fp8 v[128:131], a[100:101], a[12:13], v[128:131]// 0000000036DC: D3F30080 1E021964
	v_mfma_f32_16x16x32_fp8_fp8 v[128:131], a[102:103], a[14:15], v[128:131]// 0000000036E4: D3F30080 1E021D66
	v_mfma_f32_16x16x32_fp8_fp8 v[140:143], a[104:105], a[8:9], v[140:143]// 0000000036EC: D3F3008C 1E321168
	v_mfma_f32_16x16x32_fp8_fp8 v[140:143], a[106:107], a[10:11], v[140:143]// 0000000036F4: D3F3008C 1E32156A
	buffer_load_dwordx4 a[76:79], v51, s[84:87], 0 offen offset:1024// 0000000036FC: E05C1400 80954C33
	v_mfma_f32_16x16x32_fp8_fp8 v[140:143], a[108:109], a[12:13], v[140:143]// 000000003704: D3F3008C 1E32196C
	v_mfma_f32_16x16x32_fp8_fp8 v[140:143], a[110:111], a[14:15], v[140:143]// 00000000370C: D3F3008C 1E321D6E
	v_mfma_f32_16x16x32_fp8_fp8 v[108:111], a[80:81], a[16:17], v[108:111]// 000000003714: D3F3006C 1DB22150
	v_mfma_f32_16x16x32_fp8_fp8 v[108:111], a[82:83], a[18:19], v[108:111]// 00000000371C: D3F3006C 1DB22552
	v_mfma_f32_16x16x32_fp8_fp8 v[108:111], a[84:85], a[20:21], v[108:111]// 000000003724: D3F3006C 1DB22954
	v_mfma_f32_16x16x32_fp8_fp8 v[108:111], a[86:87], a[22:23], v[108:111]// 00000000372C: D3F3006C 1DB22D56
	v_mfma_f32_16x16x32_fp8_fp8 v[120:123], a[88:89], a[16:17], v[120:123]// 000000003734: D3F30078 1DE22158
	v_mfma_f32_16x16x32_fp8_fp8 v[120:123], a[90:91], a[18:19], v[120:123]// 00000000373C: D3F30078 1DE2255A
	v_mfma_f32_16x16x32_fp8_fp8 v[120:123], a[92:93], a[20:21], v[120:123]// 000000003744: D3F30078 1DE2295C
	v_mfma_f32_16x16x32_fp8_fp8 v[120:123], a[94:95], a[22:23], v[120:123]// 00000000374C: D3F30078 1DE22D5E
	v_mfma_f32_16x16x32_fp8_fp8 v[132:135], a[96:97], a[16:17], v[132:135]// 000000003754: D3F30084 1E122160
	s_add_u32 s60, 0x180, s80                                  // 00000000375C: 803C50FF 00000180
	s_cmp_lt_u32 s60, s81                                      // 000000003764: BF0A513C
	s_cselect_b32 s57, s57, 0                                  // 000000003768: 85398039
	v_mfma_f32_16x16x32_fp8_fp8 v[132:135], a[98:99], a[18:19], v[132:135]// 00000000376C: D3F30084 1E122562
	s_add_u32 s60, 0x100, s80                                  // 000000003774: 803C50FF 00000100
	s_cmp_lt_u32 s60, s81                                      // 00000000377C: BF0A513C
	s_cselect_b32 s58, s58, 0                                  // 000000003780: 853A803A
	v_mfma_f32_16x16x32_fp8_fp8 v[132:135], a[100:101], a[20:21], v[132:135]// 000000003784: D3F30084 1E122964
	s_add_u32 s60, 0x100, s80                                  // 00000000378C: 803C50FF 00000100
	s_cmp_lt_u32 s60, s81                                      // 000000003794: BF0A513C
	s_cselect_b32 s83, s83, 0                                  // 000000003798: 85538053
	v_mfma_f32_16x16x32_fp8_fp8 v[132:135], a[102:103], a[22:23], v[132:135]// 00000000379C: D3F30084 1E122D66
	s_add_u32 s24, s58, s24                                    // 0000000037A4: 8018183A
	s_addc_u32 s25, 0, s25                                     // 0000000037A8: 82191980
	v_mfma_f32_16x16x32_fp8_fp8 v[144:147], a[104:105], a[16:17], v[144:147]// 0000000037AC: D3F30090 1E422168
	s_add_u32 s20, s57, s20                                    // 0000000037B4: 80141439
	s_addc_u32 s21, 0, s21                                     // 0000000037B8: 82151580
	v_mfma_f32_16x16x32_fp8_fp8 v[144:147], a[106:107], a[18:19], v[144:147]// 0000000037BC: D3F30090 1E42256A
	s_add_u32 s84, s83, s84                                    // 0000000037C4: 80545453
	s_addc_u32 s85, 0, s85                                     // 0000000037C8: 82555580
	v_mfma_f32_16x16x32_fp8_fp8 v[144:147], a[108:109], a[20:21], v[144:147]// 0000000037CC: D3F30090 1E42296C
	v_mfma_f32_16x16x32_fp8_fp8 v[144:147], a[110:111], a[22:23], v[144:147]// 0000000037D4: D3F30090 1E422D6E
	s_addk_i32 s80, 0x80                                       // 0000000037DC: B7500080
	s_cmp_lt_i32 s80, s81                                      // 0000000037E0: BF045150
	s_cbranch_scc0 label_0902                                  // 0000000037E4: BF840588
	s_waitcnt vmcnt(14) lgkmcnt(0)                             // 0000000037E8: BF8C007E
	v_mfma_f32_16x16x32_fp8_fp8 v[52:55], a[112:113], a[24:25], v[52:55]// 0000000037EC: D3F30034 1CD23170
	v_mfma_f32_16x16x32_fp8_fp8 v[52:55], a[114:115], a[26:27], v[52:55]// 0000000037F4: D3F30034 1CD23572
	buffer_load_dwordx4 a[80:83], v48, s[24:27], 0 offen       // 0000000037FC: E05C1000 80865030
	v_mfma_f32_16x16x32_fp8_fp8 v[52:55], a[116:117], a[28:29], v[52:55]// 000000003804: D3F30034 1CD23974
	v_mfma_f32_16x16x32_fp8_fp8 v[52:55], a[118:119], a[30:31], v[52:55]// 00000000380C: D3F30034 1CD23D76
	v_mfma_f32_16x16x32_fp8_fp8 v[64:67], a[120:121], a[24:25], v[64:67]// 000000003814: D3F30040 1D023178
	v_mfma_f32_16x16x32_fp8_fp8 v[64:67], a[122:123], a[26:27], v[64:67]// 00000000381C: D3F30040 1D02357A
	buffer_load_dwordx4 a[84:87], v48, s[24:27], 0 offen offset:1024// 000000003824: E05C1400 80865430
	v_mfma_f32_16x16x32_fp8_fp8 v[64:67], a[124:125], a[28:29], v[64:67]// 00000000382C: D3F30040 1D02397C
	v_mfma_f32_16x16x32_fp8_fp8 v[64:67], a[126:127], a[30:31], v[64:67]// 000000003834: D3F30040 1D023D7E
	v_mfma_f32_16x16x32_fp8_fp8 v[76:79], a[128:129], a[24:25], v[76:79]// 00000000383C: D3F3004C 1D323180
	v_mfma_f32_16x16x32_fp8_fp8 v[76:79], a[130:131], a[26:27], v[76:79]// 000000003844: D3F3004C 1D323582
	buffer_load_dwordx4 a[88:91], v49, s[24:27], 0 offen       // 00000000384C: E05C1000 80865831
	v_mfma_f32_16x16x32_fp8_fp8 v[76:79], a[132:133], a[28:29], v[76:79]// 000000003854: D3F3004C 1D323984
	v_mfma_f32_16x16x32_fp8_fp8 v[76:79], a[134:135], a[30:31], v[76:79]// 00000000385C: D3F3004C 1D323D86
	v_mfma_f32_16x16x32_fp8_fp8 v[88:91], a[136:137], a[24:25], v[88:91]// 000000003864: D3F30058 1D623188
	v_mfma_f32_16x16x32_fp8_fp8 v[88:91], a[138:139], a[26:27], v[88:91]// 00000000386C: D3F30058 1D62358A
	buffer_load_dwordx4 a[92:95], v49, s[24:27], 0 offen offset:1024// 000000003874: E05C1400 80865C31
	v_mfma_f32_16x16x32_fp8_fp8 v[88:91], a[140:141], a[28:29], v[88:91]// 00000000387C: D3F30058 1D62398C
	v_mfma_f32_16x16x32_fp8_fp8 v[88:91], a[142:143], a[30:31], v[88:91]// 000000003884: D3F30058 1D623D8E
	v_mfma_f32_16x16x32_fp8_fp8 v[56:59], a[112:113], a[32:33], v[56:59]// 00000000388C: D3F30038 1CE24170
	v_mfma_f32_16x16x32_fp8_fp8 v[56:59], a[114:115], a[34:35], v[56:59]// 000000003894: D3F30038 1CE24572
	buffer_load_dwordx4 a[96:99], v50, s[24:27], 0 offen       // 00000000389C: E05C1000 80866032
	v_mfma_f32_16x16x32_fp8_fp8 v[56:59], a[116:117], a[36:37], v[56:59]// 0000000038A4: D3F30038 1CE24974
	v_mfma_f32_16x16x32_fp8_fp8 v[56:59], a[118:119], a[38:39], v[56:59]// 0000000038AC: D3F30038 1CE24D76
	v_mfma_f32_16x16x32_fp8_fp8 v[68:71], a[120:121], a[32:33], v[68:71]// 0000000038B4: D3F30044 1D124178
	v_mfma_f32_16x16x32_fp8_fp8 v[68:71], a[122:123], a[34:35], v[68:71]// 0000000038BC: D3F30044 1D12457A
	buffer_load_dwordx4 a[100:103], v50, s[24:27], 0 offen offset:1024// 0000000038C4: E05C1400 80866432
	v_mfma_f32_16x16x32_fp8_fp8 v[68:71], a[124:125], a[36:37], v[68:71]// 0000000038CC: D3F30044 1D12497C
	v_mfma_f32_16x16x32_fp8_fp8 v[68:71], a[126:127], a[38:39], v[68:71]// 0000000038D4: D3F30044 1D124D7E
	v_mfma_f32_16x16x32_fp8_fp8 v[80:83], a[128:129], a[32:33], v[80:83]// 0000000038DC: D3F30050 1D424180
	v_mfma_f32_16x16x32_fp8_fp8 v[80:83], a[130:131], a[34:35], v[80:83]// 0000000038E4: D3F30050 1D424582
	buffer_load_dwordx4 a[104:107], v51, s[24:27], 0 offen     // 0000000038EC: E05C1000 80866833
	v_mfma_f32_16x16x32_fp8_fp8 v[80:83], a[132:133], a[36:37], v[80:83]// 0000000038F4: D3F30050 1D424984
	v_mfma_f32_16x16x32_fp8_fp8 v[80:83], a[134:135], a[38:39], v[80:83]// 0000000038FC: D3F30050 1D424D86
	v_mfma_f32_16x16x32_fp8_fp8 v[92:95], a[136:137], a[32:33], v[92:95]// 000000003904: D3F3005C 1D724188
	v_mfma_f32_16x16x32_fp8_fp8 v[92:95], a[138:139], a[34:35], v[92:95]// 00000000390C: D3F3005C 1D72458A
	buffer_load_dwordx4 a[108:111], v51, s[24:27], 0 offen offset:1024// 000000003914: E05C1400 80866C33
	buffer_load_dword v42, s[20:23], 0 offen lds               // 00000000391C: E0511000 8005002A
	s_add_u32 m0, 0x100, s48                                   // 000000003924: 807C30FF 00000100
	v_mfma_f32_16x16x32_fp8_fp8 v[92:95], a[140:141], a[36:37], v[92:95]// 00000000392C: D3F3005C 1D72498C
	v_mfma_f32_16x16x32_fp8_fp8 v[92:95], a[142:143], a[38:39], v[92:95]// 000000003934: D3F3005C 1D724D8E
	buffer_load_dword v43, s[20:23], 0 offen lds               // 00000000393C: E0511000 8005002B
	s_add_u32 m0, 0x200, s48                                   // 000000003944: 807C30FF 00000200
	v_mfma_f32_16x16x32_fp8_fp8 v[60:63], a[112:113], a[40:41], v[60:63]// 00000000394C: D3F3003C 1CF25170
	v_mfma_f32_16x16x32_fp8_fp8 v[60:63], a[114:115], a[42:43], v[60:63]// 000000003954: D3F3003C 1CF25572
	buffer_load_dword v44, s[20:23], 0 offen lds               // 00000000395C: E0511000 8005002C
	s_add_u32 m0, 0x300, s48                                   // 000000003964: 807C30FF 00000300
	v_mfma_f32_16x16x32_fp8_fp8 v[60:63], a[116:117], a[44:45], v[60:63]// 00000000396C: D3F3003C 1CF25974
	v_mfma_f32_16x16x32_fp8_fp8 v[60:63], a[118:119], a[46:47], v[60:63]// 000000003974: D3F3003C 1CF25D76
	buffer_load_dword v45, s[20:23], 0 offen lds               // 00000000397C: E0511000 8005002D
	s_add_u32 m0, 0x400, s48                                   // 000000003984: 807C30FF 00000400
	v_mfma_f32_16x16x32_fp8_fp8 v[72:75], a[120:121], a[40:41], v[72:75]// 00000000398C: D3F30048 1D225178
	v_mfma_f32_16x16x32_fp8_fp8 v[72:75], a[122:123], a[42:43], v[72:75]// 000000003994: D3F30048 1D22557A
	buffer_load_dword v46, s[20:23], 0 offen lds               // 00000000399C: E0511000 8005002E
	s_add_u32 m0, 0x500, s48                                   // 0000000039A4: 807C30FF 00000500
	v_mfma_f32_16x16x32_fp8_fp8 v[72:75], a[124:125], a[44:45], v[72:75]// 0000000039AC: D3F30048 1D22597C
	v_mfma_f32_16x16x32_fp8_fp8 v[72:75], a[126:127], a[46:47], v[72:75]// 0000000039B4: D3F30048 1D225D7E
	buffer_load_dword v47, s[20:23], 0 offen lds               // 0000000039BC: E0511000 8005002F
	s_add_u32 m0, 0, s49                                       // 0000000039C4: 807C3180
	v_mfma_f32_16x16x32_fp8_fp8 v[84:87], a[128:129], a[40:41], v[84:87]// 0000000039C8: D3F30054 1D525180
	v_mfma_f32_16x16x32_fp8_fp8 v[84:87], a[130:131], a[42:43], v[84:87]// 0000000039D0: D3F30054 1D525582
	v_mfma_f32_16x16x32_fp8_fp8 v[84:87], a[132:133], a[44:45], v[84:87]// 0000000039D8: D3F30054 1D525984
	v_mfma_f32_16x16x32_fp8_fp8 v[84:87], a[134:135], a[46:47], v[84:87]// 0000000039E0: D3F30054 1D525D86
	v_mfma_f32_16x16x32_fp8_fp8 v[96:99], a[136:137], a[40:41], v[96:99]// 0000000039E8: D3F30060 1D825188
	v_mfma_f32_16x16x32_fp8_fp8 v[96:99], a[138:139], a[42:43], v[96:99]// 0000000039F0: D3F30060 1D82558A
	v_mfma_f32_16x16x32_fp8_fp8 v[96:99], a[140:141], a[44:45], v[96:99]// 0000000039F8: D3F30060 1D82598C
	v_mfma_f32_16x16x32_fp8_fp8 v[96:99], a[142:143], a[46:47], v[96:99]// 000000003A00: D3F30060 1D825D8E
	s_waitcnt vmcnt(14)                                        // 000000003A08: BF8C0F7E
	s_barrier                                                  // 000000003A0C: BF8A0000
	v_mfma_f32_16x16x32_fp8_fp8 v[100:103], a[48:49], a[24:25], v[100:103]// 000000003A10: D3F30064 1D923130
	v_mfma_f32_16x16x32_fp8_fp8 v[100:103], a[50:51], a[26:27], v[100:103]// 000000003A18: D3F30064 1D923532
	buffer_load_dwordx4 a[112:115], v48, s[84:87], 0 offen     // 000000003A20: E05C1000 80957030
	v_mfma_f32_16x16x32_fp8_fp8 v[100:103], a[52:53], a[28:29], v[100:103]// 000000003A28: D3F30064 1D923934
	v_mfma_f32_16x16x32_fp8_fp8 v[100:103], a[54:55], a[30:31], v[100:103]// 000000003A30: D3F30064 1D923D36
	ds_read_b128 a[0:3], v2 offset:12544                       // 000000003A38: DBFE3100 00000002
	ds_read_b128 a[4:7], v2 offset:12608                       // 000000003A40: DBFE3140 04000002
	v_mfma_f32_16x16x32_fp8_fp8 v[112:115], a[56:57], a[24:25], v[112:115]// 000000003A48: D3F30070 1DC23138
	v_mfma_f32_16x16x32_fp8_fp8 v[112:115], a[58:59], a[26:27], v[112:115]// 000000003A50: D3F30070 1DC2353A
	buffer_load_dwordx4 a[116:119], v48, s[84:87], 0 offen offset:1024// 000000003A58: E05C1400 80957430
	v_mfma_f32_16x16x32_fp8_fp8 v[112:115], a[60:61], a[28:29], v[112:115]// 000000003A60: D3F30070 1DC2393C
	v_mfma_f32_16x16x32_fp8_fp8 v[112:115], a[62:63], a[30:31], v[112:115]// 000000003A68: D3F30070 1DC23D3E
	ds_read_b128 a[8:11], v2 offset:13056                      // 000000003A70: DBFE3300 08000002
	ds_read_b128 a[12:15], v2 offset:13120                     // 000000003A78: DBFE3340 0C000002
	v_mfma_f32_16x16x32_fp8_fp8 v[124:127], a[64:65], a[24:25], v[124:127]// 000000003A80: D3F3007C 1DF23140
	v_mfma_f32_16x16x32_fp8_fp8 v[124:127], a[66:67], a[26:27], v[124:127]// 000000003A88: D3F3007C 1DF23542
	buffer_load_dwordx4 a[120:123], v49, s[84:87], 0 offen     // 000000003A90: E05C1000 80957831
	v_mfma_f32_16x16x32_fp8_fp8 v[124:127], a[68:69], a[28:29], v[124:127]// 000000003A98: D3F3007C 1DF23944
	v_mfma_f32_16x16x32_fp8_fp8 v[124:127], a[70:71], a[30:31], v[124:127]// 000000003AA0: D3F3007C 1DF23D46
	ds_read_b128 a[16:19], v2 offset:13568                     // 000000003AA8: DBFE3500 10000002
	ds_read_b128 a[20:23], v2 offset:13632                     // 000000003AB0: DBFE3540 14000002
	v_mfma_f32_16x16x32_fp8_fp8 v[136:139], a[72:73], a[24:25], v[136:139]// 000000003AB8: D3F30088 1E223148
	v_mfma_f32_16x16x32_fp8_fp8 v[136:139], a[74:75], a[26:27], v[136:139]// 000000003AC0: D3F30088 1E22354A
	buffer_load_dwordx4 a[124:127], v49, s[84:87], 0 offen offset:1024// 000000003AC8: E05C1400 80957C31
	v_mfma_f32_16x16x32_fp8_fp8 v[136:139], a[76:77], a[28:29], v[136:139]// 000000003AD0: D3F30088 1E22394C
	v_mfma_f32_16x16x32_fp8_fp8 v[136:139], a[78:79], a[30:31], v[136:139]// 000000003AD8: D3F30088 1E223D4E
	v_mfma_f32_16x16x32_fp8_fp8 v[104:107], a[48:49], a[32:33], v[104:107]// 000000003AE0: D3F30068 1DA24130
	v_mfma_f32_16x16x32_fp8_fp8 v[104:107], a[50:51], a[34:35], v[104:107]// 000000003AE8: D3F30068 1DA24532
	buffer_load_dwordx4 a[128:131], v50, s[84:87], 0 offen     // 000000003AF0: E05C1000 80958032
	v_mfma_f32_16x16x32_fp8_fp8 v[104:107], a[52:53], a[36:37], v[104:107]// 000000003AF8: D3F30068 1DA24934
	v_mfma_f32_16x16x32_fp8_fp8 v[104:107], a[54:55], a[38:39], v[104:107]// 000000003B00: D3F30068 1DA24D36
	v_mfma_f32_16x16x32_fp8_fp8 v[116:119], a[56:57], a[32:33], v[116:119]// 000000003B08: D3F30074 1DD24138
	v_mfma_f32_16x16x32_fp8_fp8 v[116:119], a[58:59], a[34:35], v[116:119]// 000000003B10: D3F30074 1DD2453A
	buffer_load_dwordx4 a[132:135], v50, s[84:87], 0 offen offset:1024// 000000003B18: E05C1400 80958432
	v_mfma_f32_16x16x32_fp8_fp8 v[116:119], a[60:61], a[36:37], v[116:119]// 000000003B20: D3F30074 1DD2493C
	v_mfma_f32_16x16x32_fp8_fp8 v[116:119], a[62:63], a[38:39], v[116:119]// 000000003B28: D3F30074 1DD24D3E
	v_mfma_f32_16x16x32_fp8_fp8 v[128:131], a[64:65], a[32:33], v[128:131]// 000000003B30: D3F30080 1E024140
	v_mfma_f32_16x16x32_fp8_fp8 v[128:131], a[66:67], a[34:35], v[128:131]// 000000003B38: D3F30080 1E024542
	buffer_load_dwordx4 a[136:139], v51, s[84:87], 0 offen     // 000000003B40: E05C1000 80958833
	v_mfma_f32_16x16x32_fp8_fp8 v[128:131], a[68:69], a[36:37], v[128:131]// 000000003B48: D3F30080 1E024944
	v_mfma_f32_16x16x32_fp8_fp8 v[128:131], a[70:71], a[38:39], v[128:131]// 000000003B50: D3F30080 1E024D46
	v_mfma_f32_16x16x32_fp8_fp8 v[140:143], a[72:73], a[32:33], v[140:143]// 000000003B58: D3F3008C 1E324148
	v_mfma_f32_16x16x32_fp8_fp8 v[140:143], a[74:75], a[34:35], v[140:143]// 000000003B60: D3F3008C 1E32454A
	buffer_load_dwordx4 a[140:143], v51, s[84:87], 0 offen offset:1024// 000000003B68: E05C1400 80958C33
	v_mfma_f32_16x16x32_fp8_fp8 v[140:143], a[76:77], a[36:37], v[140:143]// 000000003B70: D3F3008C 1E32494C
	v_mfma_f32_16x16x32_fp8_fp8 v[140:143], a[78:79], a[38:39], v[140:143]// 000000003B78: D3F3008C 1E324D4E
	v_mfma_f32_16x16x32_fp8_fp8 v[108:111], a[48:49], a[40:41], v[108:111]// 000000003B80: D3F3006C 1DB25130
	v_mfma_f32_16x16x32_fp8_fp8 v[108:111], a[50:51], a[42:43], v[108:111]// 000000003B88: D3F3006C 1DB25532
	v_mfma_f32_16x16x32_fp8_fp8 v[108:111], a[52:53], a[44:45], v[108:111]// 000000003B90: D3F3006C 1DB25934
	v_mfma_f32_16x16x32_fp8_fp8 v[108:111], a[54:55], a[46:47], v[108:111]// 000000003B98: D3F3006C 1DB25D36
	v_mfma_f32_16x16x32_fp8_fp8 v[120:123], a[56:57], a[40:41], v[120:123]// 000000003BA0: D3F30078 1DE25138
	v_mfma_f32_16x16x32_fp8_fp8 v[120:123], a[58:59], a[42:43], v[120:123]// 000000003BA8: D3F30078 1DE2553A
	v_mfma_f32_16x16x32_fp8_fp8 v[120:123], a[60:61], a[44:45], v[120:123]// 000000003BB0: D3F30078 1DE2593C
	v_mfma_f32_16x16x32_fp8_fp8 v[120:123], a[62:63], a[46:47], v[120:123]// 000000003BB8: D3F30078 1DE25D3E
	v_mfma_f32_16x16x32_fp8_fp8 v[132:135], a[64:65], a[40:41], v[132:135]// 000000003BC0: D3F30084 1E125140
	s_add_u32 s60, 0x180, s80                                  // 000000003BC8: 803C50FF 00000180
	s_cmp_lt_u32 s60, s81                                      // 000000003BD0: BF0A513C
	s_cselect_b32 s57, s57, 0                                  // 000000003BD4: 85398039
	v_mfma_f32_16x16x32_fp8_fp8 v[132:135], a[66:67], a[42:43], v[132:135]// 000000003BD8: D3F30084 1E125542
	s_add_u32 s60, 0x100, s80                                  // 000000003BE0: 803C50FF 00000100
	s_cmp_lt_u32 s60, s81                                      // 000000003BE8: BF0A513C
	s_cselect_b32 s58, s58, 0                                  // 000000003BEC: 853A803A
	v_mfma_f32_16x16x32_fp8_fp8 v[132:135], a[68:69], a[44:45], v[132:135]// 000000003BF0: D3F30084 1E125944
	s_add_u32 s60, 0x100, s80                                  // 000000003BF8: 803C50FF 00000100
	s_cmp_lt_u32 s60, s81                                      // 000000003C00: BF0A513C
	s_cselect_b32 s83, s83, 0                                  // 000000003C04: 85538053
	v_mfma_f32_16x16x32_fp8_fp8 v[132:135], a[70:71], a[46:47], v[132:135]// 000000003C08: D3F30084 1E125D46
	s_add_u32 s24, s58, s24                                    // 000000003C10: 8018183A
	s_addc_u32 s25, 0, s25                                     // 000000003C14: 82191980
	v_mfma_f32_16x16x32_fp8_fp8 v[144:147], a[72:73], a[40:41], v[144:147]// 000000003C18: D3F30090 1E425148
	s_add_u32 s20, s57, s20                                    // 000000003C20: 80141439
	s_addc_u32 s21, 0, s21                                     // 000000003C24: 82151580
	v_mfma_f32_16x16x32_fp8_fp8 v[144:147], a[74:75], a[42:43], v[144:147]// 000000003C28: D3F30090 1E42554A
	s_add_u32 s84, s83, s84                                    // 000000003C30: 80545453
	s_addc_u32 s85, 0, s85                                     // 000000003C34: 82555580
	v_mfma_f32_16x16x32_fp8_fp8 v[144:147], a[76:77], a[44:45], v[144:147]// 000000003C38: D3F30090 1E42594C
	v_mfma_f32_16x16x32_fp8_fp8 v[144:147], a[78:79], a[46:47], v[144:147]// 000000003C40: D3F30090 1E425D4E
	s_addk_i32 s80, 0x80                                       // 000000003C48: B7500080
	s_cmp_lt_i32 s80, s81                                      // 000000003C4C: BF045150
	s_cbranch_scc0 label_0902                                  // 000000003C50: BF84046D
	s_waitcnt vmcnt(14) lgkmcnt(0)                             // 000000003C54: BF8C007E
	v_mfma_f32_16x16x32_fp8_fp8 v[52:55], a[80:81], a[0:1], v[52:55]// 000000003C58: D3F30034 1CD20150
	v_mfma_f32_16x16x32_fp8_fp8 v[52:55], a[82:83], a[2:3], v[52:55]// 000000003C60: D3F30034 1CD20552
	buffer_load_dwordx4 a[48:51], v48, s[24:27], 0 offen       // 000000003C68: E05C1000 80863030
	v_mfma_f32_16x16x32_fp8_fp8 v[52:55], a[84:85], a[4:5], v[52:55]// 000000003C70: D3F30034 1CD20954
	v_mfma_f32_16x16x32_fp8_fp8 v[52:55], a[86:87], a[6:7], v[52:55]// 000000003C78: D3F30034 1CD20D56
	v_mfma_f32_16x16x32_fp8_fp8 v[64:67], a[88:89], a[0:1], v[64:67]// 000000003C80: D3F30040 1D020158
	v_mfma_f32_16x16x32_fp8_fp8 v[64:67], a[90:91], a[2:3], v[64:67]// 000000003C88: D3F30040 1D02055A
	buffer_load_dwordx4 a[52:55], v48, s[24:27], 0 offen offset:1024// 000000003C90: E05C1400 80863430
	v_mfma_f32_16x16x32_fp8_fp8 v[64:67], a[92:93], a[4:5], v[64:67]// 000000003C98: D3F30040 1D02095C
	v_mfma_f32_16x16x32_fp8_fp8 v[64:67], a[94:95], a[6:7], v[64:67]// 000000003CA0: D3F30040 1D020D5E
	v_mfma_f32_16x16x32_fp8_fp8 v[76:79], a[96:97], a[0:1], v[76:79]// 000000003CA8: D3F3004C 1D320160
	v_mfma_f32_16x16x32_fp8_fp8 v[76:79], a[98:99], a[2:3], v[76:79]// 000000003CB0: D3F3004C 1D320562
	buffer_load_dwordx4 a[56:59], v49, s[24:27], 0 offen       // 000000003CB8: E05C1000 80863831
	v_mfma_f32_16x16x32_fp8_fp8 v[76:79], a[100:101], a[4:5], v[76:79]// 000000003CC0: D3F3004C 1D320964
	v_mfma_f32_16x16x32_fp8_fp8 v[76:79], a[102:103], a[6:7], v[76:79]// 000000003CC8: D3F3004C 1D320D66
	v_mfma_f32_16x16x32_fp8_fp8 v[88:91], a[104:105], a[0:1], v[88:91]// 000000003CD0: D3F30058 1D620168
	v_mfma_f32_16x16x32_fp8_fp8 v[88:91], a[106:107], a[2:3], v[88:91]// 000000003CD8: D3F30058 1D62056A
	buffer_load_dwordx4 a[60:63], v49, s[24:27], 0 offen offset:1024// 000000003CE0: E05C1400 80863C31
	v_mfma_f32_16x16x32_fp8_fp8 v[88:91], a[108:109], a[4:5], v[88:91]// 000000003CE8: D3F30058 1D62096C
	v_mfma_f32_16x16x32_fp8_fp8 v[88:91], a[110:111], a[6:7], v[88:91]// 000000003CF0: D3F30058 1D620D6E
	v_mfma_f32_16x16x32_fp8_fp8 v[56:59], a[80:81], a[8:9], v[56:59]// 000000003CF8: D3F30038 1CE21150
	v_mfma_f32_16x16x32_fp8_fp8 v[56:59], a[82:83], a[10:11], v[56:59]// 000000003D00: D3F30038 1CE21552
	buffer_load_dwordx4 a[64:67], v50, s[24:27], 0 offen       // 000000003D08: E05C1000 80864032
	v_mfma_f32_16x16x32_fp8_fp8 v[56:59], a[84:85], a[12:13], v[56:59]// 000000003D10: D3F30038 1CE21954
	v_mfma_f32_16x16x32_fp8_fp8 v[56:59], a[86:87], a[14:15], v[56:59]// 000000003D18: D3F30038 1CE21D56
	v_mfma_f32_16x16x32_fp8_fp8 v[68:71], a[88:89], a[8:9], v[68:71]// 000000003D20: D3F30044 1D121158
	v_mfma_f32_16x16x32_fp8_fp8 v[68:71], a[90:91], a[10:11], v[68:71]// 000000003D28: D3F30044 1D12155A
	buffer_load_dwordx4 a[68:71], v50, s[24:27], 0 offen offset:1024// 000000003D30: E05C1400 80864432
	v_mfma_f32_16x16x32_fp8_fp8 v[68:71], a[92:93], a[12:13], v[68:71]// 000000003D38: D3F30044 1D12195C
	v_mfma_f32_16x16x32_fp8_fp8 v[68:71], a[94:95], a[14:15], v[68:71]// 000000003D40: D3F30044 1D121D5E
	v_mfma_f32_16x16x32_fp8_fp8 v[80:83], a[96:97], a[8:9], v[80:83]// 000000003D48: D3F30050 1D421160
	v_mfma_f32_16x16x32_fp8_fp8 v[80:83], a[98:99], a[10:11], v[80:83]// 000000003D50: D3F30050 1D421562
	buffer_load_dwordx4 a[72:75], v51, s[24:27], 0 offen       // 000000003D58: E05C1000 80864833
	v_mfma_f32_16x16x32_fp8_fp8 v[80:83], a[100:101], a[12:13], v[80:83]// 000000003D60: D3F30050 1D421964
	v_mfma_f32_16x16x32_fp8_fp8 v[80:83], a[102:103], a[14:15], v[80:83]// 000000003D68: D3F30050 1D421D66
	v_mfma_f32_16x16x32_fp8_fp8 v[92:95], a[104:105], a[8:9], v[92:95]// 000000003D70: D3F3005C 1D721168
	v_mfma_f32_16x16x32_fp8_fp8 v[92:95], a[106:107], a[10:11], v[92:95]// 000000003D78: D3F3005C 1D72156A
	buffer_load_dwordx4 a[76:79], v51, s[24:27], 0 offen offset:1024// 000000003D80: E05C1400 80864C33
	buffer_load_dword v42, s[20:23], 0 offen lds               // 000000003D88: E0511000 8005002A
	s_add_u32 m0, 0x100, s49                                   // 000000003D90: 807C31FF 00000100
	v_mfma_f32_16x16x32_fp8_fp8 v[92:95], a[108:109], a[12:13], v[92:95]// 000000003D98: D3F3005C 1D72196C
	v_mfma_f32_16x16x32_fp8_fp8 v[92:95], a[110:111], a[14:15], v[92:95]// 000000003DA0: D3F3005C 1D721D6E
	buffer_load_dword v43, s[20:23], 0 offen lds               // 000000003DA8: E0511000 8005002B
	s_add_u32 m0, 0x200, s49                                   // 000000003DB0: 807C31FF 00000200
	v_mfma_f32_16x16x32_fp8_fp8 v[60:63], a[80:81], a[16:17], v[60:63]// 000000003DB8: D3F3003C 1CF22150
	v_mfma_f32_16x16x32_fp8_fp8 v[60:63], a[82:83], a[18:19], v[60:63]// 000000003DC0: D3F3003C 1CF22552
	buffer_load_dword v44, s[20:23], 0 offen lds               // 000000003DC8: E0511000 8005002C
	s_add_u32 m0, 0x300, s49                                   // 000000003DD0: 807C31FF 00000300
	v_mfma_f32_16x16x32_fp8_fp8 v[60:63], a[84:85], a[20:21], v[60:63]// 000000003DD8: D3F3003C 1CF22954
	v_mfma_f32_16x16x32_fp8_fp8 v[60:63], a[86:87], a[22:23], v[60:63]// 000000003DE0: D3F3003C 1CF22D56
	buffer_load_dword v45, s[20:23], 0 offen lds               // 000000003DE8: E0511000 8005002D
	s_add_u32 m0, 0x400, s49                                   // 000000003DF0: 807C31FF 00000400
	v_mfma_f32_16x16x32_fp8_fp8 v[72:75], a[88:89], a[16:17], v[72:75]// 000000003DF8: D3F30048 1D222158
	v_mfma_f32_16x16x32_fp8_fp8 v[72:75], a[90:91], a[18:19], v[72:75]// 000000003E00: D3F30048 1D22255A
	buffer_load_dword v46, s[20:23], 0 offen lds               // 000000003E08: E0511000 8005002E
	s_add_u32 m0, 0x500, s49                                   // 000000003E10: 807C31FF 00000500
	v_mfma_f32_16x16x32_fp8_fp8 v[72:75], a[92:93], a[20:21], v[72:75]// 000000003E18: D3F30048 1D22295C
	v_mfma_f32_16x16x32_fp8_fp8 v[72:75], a[94:95], a[22:23], v[72:75]// 000000003E20: D3F30048 1D222D5E
	buffer_load_dword v47, s[20:23], 0 offen lds               // 000000003E28: E0511000 8005002F
	s_add_u32 m0, 0, s50                                       // 000000003E30: 807C3280
	v_mfma_f32_16x16x32_fp8_fp8 v[84:87], a[96:97], a[16:17], v[84:87]// 000000003E34: D3F30054 1D522160
	v_mfma_f32_16x16x32_fp8_fp8 v[84:87], a[98:99], a[18:19], v[84:87]// 000000003E3C: D3F30054 1D522562
	v_mfma_f32_16x16x32_fp8_fp8 v[84:87], a[100:101], a[20:21], v[84:87]// 000000003E44: D3F30054 1D522964
	v_mfma_f32_16x16x32_fp8_fp8 v[84:87], a[102:103], a[22:23], v[84:87]// 000000003E4C: D3F30054 1D522D66
	v_mfma_f32_16x16x32_fp8_fp8 v[96:99], a[104:105], a[16:17], v[96:99]// 000000003E54: D3F30060 1D822168
	v_mfma_f32_16x16x32_fp8_fp8 v[96:99], a[106:107], a[18:19], v[96:99]// 000000003E5C: D3F30060 1D82256A
	v_mfma_f32_16x16x32_fp8_fp8 v[96:99], a[108:109], a[20:21], v[96:99]// 000000003E64: D3F30060 1D82296C
	v_mfma_f32_16x16x32_fp8_fp8 v[96:99], a[110:111], a[22:23], v[96:99]// 000000003E6C: D3F30060 1D822D6E
	s_waitcnt vmcnt(14)                                        // 000000003E74: BF8C0F7E
	s_barrier                                                  // 000000003E78: BF8A0000
	v_mfma_f32_16x16x32_fp8_fp8 v[100:103], a[112:113], a[0:1], v[100:103]// 000000003E7C: D3F30064 1D920170
	v_mfma_f32_16x16x32_fp8_fp8 v[100:103], a[114:115], a[2:3], v[100:103]// 000000003E84: D3F30064 1D920572
	buffer_load_dwordx4 a[80:83], v48, s[84:87], 0 offen       // 000000003E8C: E05C1000 80955030
	v_mfma_f32_16x16x32_fp8_fp8 v[100:103], a[116:117], a[4:5], v[100:103]// 000000003E94: D3F30064 1D920974
	v_mfma_f32_16x16x32_fp8_fp8 v[100:103], a[118:119], a[6:7], v[100:103]// 000000003E9C: D3F30064 1D920D76
	ds_read_b128 a[24:27], v2                                  // 000000003EA4: DBFE0000 18000002
	ds_read_b128 a[28:31], v2 offset:64                        // 000000003EAC: DBFE0040 1C000002
	v_mfma_f32_16x16x32_fp8_fp8 v[112:115], a[120:121], a[0:1], v[112:115]// 000000003EB4: D3F30070 1DC20178
	v_mfma_f32_16x16x32_fp8_fp8 v[112:115], a[122:123], a[2:3], v[112:115]// 000000003EBC: D3F30070 1DC2057A
	buffer_load_dwordx4 a[84:87], v48, s[84:87], 0 offen offset:1024// 000000003EC4: E05C1400 80955430
	v_mfma_f32_16x16x32_fp8_fp8 v[112:115], a[124:125], a[4:5], v[112:115]// 000000003ECC: D3F30070 1DC2097C
	v_mfma_f32_16x16x32_fp8_fp8 v[112:115], a[126:127], a[6:7], v[112:115]// 000000003ED4: D3F30070 1DC20D7E
	ds_read_b128 a[32:35], v2 offset:512                       // 000000003EDC: DBFE0200 20000002
	ds_read_b128 a[36:39], v2 offset:576                       // 000000003EE4: DBFE0240 24000002
	v_mfma_f32_16x16x32_fp8_fp8 v[124:127], a[128:129], a[0:1], v[124:127]// 000000003EEC: D3F3007C 1DF20180
	v_mfma_f32_16x16x32_fp8_fp8 v[124:127], a[130:131], a[2:3], v[124:127]// 000000003EF4: D3F3007C 1DF20582
	buffer_load_dwordx4 a[88:91], v49, s[84:87], 0 offen       // 000000003EFC: E05C1000 80955831
	v_mfma_f32_16x16x32_fp8_fp8 v[124:127], a[132:133], a[4:5], v[124:127]// 000000003F04: D3F3007C 1DF20984
	v_mfma_f32_16x16x32_fp8_fp8 v[124:127], a[134:135], a[6:7], v[124:127]// 000000003F0C: D3F3007C 1DF20D86
	ds_read_b128 a[40:43], v2 offset:1024                      // 000000003F14: DBFE0400 28000002
	ds_read_b128 a[44:47], v2 offset:1088                      // 000000003F1C: DBFE0440 2C000002
	v_mfma_f32_16x16x32_fp8_fp8 v[136:139], a[136:137], a[0:1], v[136:139]// 000000003F24: D3F30088 1E220188
	v_mfma_f32_16x16x32_fp8_fp8 v[136:139], a[138:139], a[2:3], v[136:139]// 000000003F2C: D3F30088 1E22058A
	buffer_load_dwordx4 a[92:95], v49, s[84:87], 0 offen offset:1024// 000000003F34: E05C1400 80955C31
	v_mfma_f32_16x16x32_fp8_fp8 v[136:139], a[140:141], a[4:5], v[136:139]// 000000003F3C: D3F30088 1E22098C
	v_mfma_f32_16x16x32_fp8_fp8 v[136:139], a[142:143], a[6:7], v[136:139]// 000000003F44: D3F30088 1E220D8E
	v_mfma_f32_16x16x32_fp8_fp8 v[104:107], a[112:113], a[8:9], v[104:107]// 000000003F4C: D3F30068 1DA21170
	v_mfma_f32_16x16x32_fp8_fp8 v[104:107], a[114:115], a[10:11], v[104:107]// 000000003F54: D3F30068 1DA21572
	buffer_load_dwordx4 a[96:99], v50, s[84:87], 0 offen       // 000000003F5C: E05C1000 80956032
	v_mfma_f32_16x16x32_fp8_fp8 v[104:107], a[116:117], a[12:13], v[104:107]// 000000003F64: D3F30068 1DA21974
	v_mfma_f32_16x16x32_fp8_fp8 v[104:107], a[118:119], a[14:15], v[104:107]// 000000003F6C: D3F30068 1DA21D76
	v_mfma_f32_16x16x32_fp8_fp8 v[116:119], a[120:121], a[8:9], v[116:119]// 000000003F74: D3F30074 1DD21178
	v_mfma_f32_16x16x32_fp8_fp8 v[116:119], a[122:123], a[10:11], v[116:119]// 000000003F7C: D3F30074 1DD2157A
	buffer_load_dwordx4 a[100:103], v50, s[84:87], 0 offen offset:1024// 000000003F84: E05C1400 80956432
	v_mfma_f32_16x16x32_fp8_fp8 v[116:119], a[124:125], a[12:13], v[116:119]// 000000003F8C: D3F30074 1DD2197C
	v_mfma_f32_16x16x32_fp8_fp8 v[116:119], a[126:127], a[14:15], v[116:119]// 000000003F94: D3F30074 1DD21D7E
	v_mfma_f32_16x16x32_fp8_fp8 v[128:131], a[128:129], a[8:9], v[128:131]// 000000003F9C: D3F30080 1E021180
	v_mfma_f32_16x16x32_fp8_fp8 v[128:131], a[130:131], a[10:11], v[128:131]// 000000003FA4: D3F30080 1E021582
	buffer_load_dwordx4 a[104:107], v51, s[84:87], 0 offen     // 000000003FAC: E05C1000 80956833
	v_mfma_f32_16x16x32_fp8_fp8 v[128:131], a[132:133], a[12:13], v[128:131]// 000000003FB4: D3F30080 1E021984
	v_mfma_f32_16x16x32_fp8_fp8 v[128:131], a[134:135], a[14:15], v[128:131]// 000000003FBC: D3F30080 1E021D86
	v_mfma_f32_16x16x32_fp8_fp8 v[140:143], a[136:137], a[8:9], v[140:143]// 000000003FC4: D3F3008C 1E321188
	v_mfma_f32_16x16x32_fp8_fp8 v[140:143], a[138:139], a[10:11], v[140:143]// 000000003FCC: D3F3008C 1E32158A
	buffer_load_dwordx4 a[108:111], v51, s[84:87], 0 offen offset:1024// 000000003FD4: E05C1400 80956C33
	v_mfma_f32_16x16x32_fp8_fp8 v[140:143], a[140:141], a[12:13], v[140:143]// 000000003FDC: D3F3008C 1E32198C
	v_mfma_f32_16x16x32_fp8_fp8 v[140:143], a[142:143], a[14:15], v[140:143]// 000000003FE4: D3F3008C 1E321D8E
	v_mfma_f32_16x16x32_fp8_fp8 v[108:111], a[112:113], a[16:17], v[108:111]// 000000003FEC: D3F3006C 1DB22170
	v_mfma_f32_16x16x32_fp8_fp8 v[108:111], a[114:115], a[18:19], v[108:111]// 000000003FF4: D3F3006C 1DB22572
	v_mfma_f32_16x16x32_fp8_fp8 v[108:111], a[116:117], a[20:21], v[108:111]// 000000003FFC: D3F3006C 1DB22974
	v_mfma_f32_16x16x32_fp8_fp8 v[108:111], a[118:119], a[22:23], v[108:111]// 000000004004: D3F3006C 1DB22D76
	v_mfma_f32_16x16x32_fp8_fp8 v[120:123], a[120:121], a[16:17], v[120:123]// 00000000400C: D3F30078 1DE22178
	v_mfma_f32_16x16x32_fp8_fp8 v[120:123], a[122:123], a[18:19], v[120:123]// 000000004014: D3F30078 1DE2257A
	v_mfma_f32_16x16x32_fp8_fp8 v[120:123], a[124:125], a[20:21], v[120:123]// 00000000401C: D3F30078 1DE2297C
	v_mfma_f32_16x16x32_fp8_fp8 v[120:123], a[126:127], a[22:23], v[120:123]// 000000004024: D3F30078 1DE22D7E
	v_mfma_f32_16x16x32_fp8_fp8 v[132:135], a[128:129], a[16:17], v[132:135]// 00000000402C: D3F30084 1E122180
	s_add_u32 s60, 0x180, s80                                  // 000000004034: 803C50FF 00000180
	s_cmp_lt_u32 s60, s81                                      // 00000000403C: BF0A513C
	s_cselect_b32 s57, s57, 0                                  // 000000004040: 85398039
	v_mfma_f32_16x16x32_fp8_fp8 v[132:135], a[130:131], a[18:19], v[132:135]// 000000004044: D3F30084 1E122582
	s_add_u32 s60, 0x100, s80                                  // 00000000404C: 803C50FF 00000100
	s_cmp_lt_u32 s60, s81                                      // 000000004054: BF0A513C
	s_cselect_b32 s58, s58, 0                                  // 000000004058: 853A803A
	v_mfma_f32_16x16x32_fp8_fp8 v[132:135], a[132:133], a[20:21], v[132:135]// 00000000405C: D3F30084 1E122984
	s_add_u32 s60, 0x100, s80                                  // 000000004064: 803C50FF 00000100
	s_cmp_lt_u32 s60, s81                                      // 00000000406C: BF0A513C
	s_cselect_b32 s83, s83, 0                                  // 000000004070: 85538053
	v_mfma_f32_16x16x32_fp8_fp8 v[132:135], a[134:135], a[22:23], v[132:135]// 000000004074: D3F30084 1E122D86
	s_add_u32 s24, s58, s24                                    // 00000000407C: 8018183A
	s_addc_u32 s25, 0, s25                                     // 000000004080: 82191980
	v_mfma_f32_16x16x32_fp8_fp8 v[144:147], a[136:137], a[16:17], v[144:147]// 000000004084: D3F30090 1E422188
	s_add_u32 s20, s57, s20                                    // 00000000408C: 80141439
	s_addc_u32 s21, 0, s21                                     // 000000004090: 82151580
	v_mfma_f32_16x16x32_fp8_fp8 v[144:147], a[138:139], a[18:19], v[144:147]// 000000004094: D3F30090 1E42258A
	s_add_u32 s84, s83, s84                                    // 00000000409C: 80545453
	s_addc_u32 s85, 0, s85                                     // 0000000040A0: 82555580
	v_mfma_f32_16x16x32_fp8_fp8 v[144:147], a[140:141], a[20:21], v[144:147]// 0000000040A4: D3F30090 1E42298C
	v_mfma_f32_16x16x32_fp8_fp8 v[144:147], a[142:143], a[22:23], v[144:147]// 0000000040AC: D3F30090 1E422D8E
	s_addk_i32 s80, 0x80                                       // 0000000040B4: B7500080
	s_cmp_lt_i32 s80, s81                                      // 0000000040B8: BF045150
	s_cbranch_scc0 label_0902                                  // 0000000040BC: BF840352
	s_waitcnt vmcnt(14) lgkmcnt(0)                             // 0000000040C0: BF8C007E
	v_mfma_f32_16x16x32_fp8_fp8 v[52:55], a[48:49], a[24:25], v[52:55]// 0000000040C4: D3F30034 1CD23130
	v_mfma_f32_16x16x32_fp8_fp8 v[52:55], a[50:51], a[26:27], v[52:55]// 0000000040CC: D3F30034 1CD23532
	buffer_load_dwordx4 a[112:115], v48, s[24:27], 0 offen     // 0000000040D4: E05C1000 80867030
	v_mfma_f32_16x16x32_fp8_fp8 v[52:55], a[52:53], a[28:29], v[52:55]// 0000000040DC: D3F30034 1CD23934
	v_mfma_f32_16x16x32_fp8_fp8 v[52:55], a[54:55], a[30:31], v[52:55]// 0000000040E4: D3F30034 1CD23D36
	v_mfma_f32_16x16x32_fp8_fp8 v[64:67], a[56:57], a[24:25], v[64:67]// 0000000040EC: D3F30040 1D023138
	v_mfma_f32_16x16x32_fp8_fp8 v[64:67], a[58:59], a[26:27], v[64:67]// 0000000040F4: D3F30040 1D02353A
	buffer_load_dwordx4 a[116:119], v48, s[24:27], 0 offen offset:1024// 0000000040FC: E05C1400 80867430
	v_mfma_f32_16x16x32_fp8_fp8 v[64:67], a[60:61], a[28:29], v[64:67]// 000000004104: D3F30040 1D02393C
	v_mfma_f32_16x16x32_fp8_fp8 v[64:67], a[62:63], a[30:31], v[64:67]// 00000000410C: D3F30040 1D023D3E
	v_mfma_f32_16x16x32_fp8_fp8 v[76:79], a[64:65], a[24:25], v[76:79]// 000000004114: D3F3004C 1D323140
	v_mfma_f32_16x16x32_fp8_fp8 v[76:79], a[66:67], a[26:27], v[76:79]// 00000000411C: D3F3004C 1D323542
	buffer_load_dwordx4 a[120:123], v49, s[24:27], 0 offen     // 000000004124: E05C1000 80867831
	v_mfma_f32_16x16x32_fp8_fp8 v[76:79], a[68:69], a[28:29], v[76:79]// 00000000412C: D3F3004C 1D323944
	v_mfma_f32_16x16x32_fp8_fp8 v[76:79], a[70:71], a[30:31], v[76:79]// 000000004134: D3F3004C 1D323D46
	v_mfma_f32_16x16x32_fp8_fp8 v[88:91], a[72:73], a[24:25], v[88:91]// 00000000413C: D3F30058 1D623148
	v_mfma_f32_16x16x32_fp8_fp8 v[88:91], a[74:75], a[26:27], v[88:91]// 000000004144: D3F30058 1D62354A
	buffer_load_dwordx4 a[124:127], v49, s[24:27], 0 offen offset:1024// 00000000414C: E05C1400 80867C31
	v_mfma_f32_16x16x32_fp8_fp8 v[88:91], a[76:77], a[28:29], v[88:91]// 000000004154: D3F30058 1D62394C
	v_mfma_f32_16x16x32_fp8_fp8 v[88:91], a[78:79], a[30:31], v[88:91]// 00000000415C: D3F30058 1D623D4E
	v_mfma_f32_16x16x32_fp8_fp8 v[56:59], a[48:49], a[32:33], v[56:59]// 000000004164: D3F30038 1CE24130
	v_mfma_f32_16x16x32_fp8_fp8 v[56:59], a[50:51], a[34:35], v[56:59]// 00000000416C: D3F30038 1CE24532
	buffer_load_dwordx4 a[128:131], v50, s[24:27], 0 offen     // 000000004174: E05C1000 80868032
	v_mfma_f32_16x16x32_fp8_fp8 v[56:59], a[52:53], a[36:37], v[56:59]// 00000000417C: D3F30038 1CE24934
	v_mfma_f32_16x16x32_fp8_fp8 v[56:59], a[54:55], a[38:39], v[56:59]// 000000004184: D3F30038 1CE24D36
	v_mfma_f32_16x16x32_fp8_fp8 v[68:71], a[56:57], a[32:33], v[68:71]// 00000000418C: D3F30044 1D124138
	v_mfma_f32_16x16x32_fp8_fp8 v[68:71], a[58:59], a[34:35], v[68:71]// 000000004194: D3F30044 1D12453A
	buffer_load_dwordx4 a[132:135], v50, s[24:27], 0 offen offset:1024// 00000000419C: E05C1400 80868432
	v_mfma_f32_16x16x32_fp8_fp8 v[68:71], a[60:61], a[36:37], v[68:71]// 0000000041A4: D3F30044 1D12493C
	v_mfma_f32_16x16x32_fp8_fp8 v[68:71], a[62:63], a[38:39], v[68:71]// 0000000041AC: D3F30044 1D124D3E
	v_mfma_f32_16x16x32_fp8_fp8 v[80:83], a[64:65], a[32:33], v[80:83]// 0000000041B4: D3F30050 1D424140
	v_mfma_f32_16x16x32_fp8_fp8 v[80:83], a[66:67], a[34:35], v[80:83]// 0000000041BC: D3F30050 1D424542
	buffer_load_dwordx4 a[136:139], v51, s[24:27], 0 offen     // 0000000041C4: E05C1000 80868833
	v_mfma_f32_16x16x32_fp8_fp8 v[80:83], a[68:69], a[36:37], v[80:83]// 0000000041CC: D3F30050 1D424944
	v_mfma_f32_16x16x32_fp8_fp8 v[80:83], a[70:71], a[38:39], v[80:83]// 0000000041D4: D3F30050 1D424D46
	v_mfma_f32_16x16x32_fp8_fp8 v[92:95], a[72:73], a[32:33], v[92:95]// 0000000041DC: D3F3005C 1D724148
	v_mfma_f32_16x16x32_fp8_fp8 v[92:95], a[74:75], a[34:35], v[92:95]// 0000000041E4: D3F3005C 1D72454A
	buffer_load_dwordx4 a[140:143], v51, s[24:27], 0 offen offset:1024// 0000000041EC: E05C1400 80868C33
	buffer_load_dword v42, s[20:23], 0 offen lds               // 0000000041F4: E0511000 8005002A
	s_add_u32 m0, 0x100, s50                                   // 0000000041FC: 807C32FF 00000100
	v_mfma_f32_16x16x32_fp8_fp8 v[92:95], a[76:77], a[36:37], v[92:95]// 000000004204: D3F3005C 1D72494C
	v_mfma_f32_16x16x32_fp8_fp8 v[92:95], a[78:79], a[38:39], v[92:95]// 00000000420C: D3F3005C 1D724D4E
	buffer_load_dword v43, s[20:23], 0 offen lds               // 000000004214: E0511000 8005002B
	s_add_u32 m0, 0x200, s50                                   // 00000000421C: 807C32FF 00000200
	v_mfma_f32_16x16x32_fp8_fp8 v[60:63], a[48:49], a[40:41], v[60:63]// 000000004224: D3F3003C 1CF25130
	v_mfma_f32_16x16x32_fp8_fp8 v[60:63], a[50:51], a[42:43], v[60:63]// 00000000422C: D3F3003C 1CF25532
	buffer_load_dword v44, s[20:23], 0 offen lds               // 000000004234: E0511000 8005002C
	s_add_u32 m0, 0x300, s50                                   // 00000000423C: 807C32FF 00000300
	v_mfma_f32_16x16x32_fp8_fp8 v[60:63], a[52:53], a[44:45], v[60:63]// 000000004244: D3F3003C 1CF25934
	v_mfma_f32_16x16x32_fp8_fp8 v[60:63], a[54:55], a[46:47], v[60:63]// 00000000424C: D3F3003C 1CF25D36
	buffer_load_dword v45, s[20:23], 0 offen lds               // 000000004254: E0511000 8005002D
	s_add_u32 m0, 0x400, s50                                   // 00000000425C: 807C32FF 00000400
	v_mfma_f32_16x16x32_fp8_fp8 v[72:75], a[56:57], a[40:41], v[72:75]// 000000004264: D3F30048 1D225138
	v_mfma_f32_16x16x32_fp8_fp8 v[72:75], a[58:59], a[42:43], v[72:75]// 00000000426C: D3F30048 1D22553A
	buffer_load_dword v46, s[20:23], 0 offen lds               // 000000004274: E0511000 8005002E
	s_add_u32 m0, 0x500, s50                                   // 00000000427C: 807C32FF 00000500
	v_mfma_f32_16x16x32_fp8_fp8 v[72:75], a[60:61], a[44:45], v[72:75]// 000000004284: D3F30048 1D22593C
	v_mfma_f32_16x16x32_fp8_fp8 v[72:75], a[62:63], a[46:47], v[72:75]// 00000000428C: D3F30048 1D225D3E
	buffer_load_dword v47, s[20:23], 0 offen lds               // 000000004294: E0511000 8005002F
	s_add_u32 m0, 0, s48                                       // 00000000429C: 807C3080
	v_mfma_f32_16x16x32_fp8_fp8 v[84:87], a[64:65], a[40:41], v[84:87]// 0000000042A0: D3F30054 1D525140
	v_mfma_f32_16x16x32_fp8_fp8 v[84:87], a[66:67], a[42:43], v[84:87]// 0000000042A8: D3F30054 1D525542
	v_mfma_f32_16x16x32_fp8_fp8 v[84:87], a[68:69], a[44:45], v[84:87]// 0000000042B0: D3F30054 1D525944
	v_mfma_f32_16x16x32_fp8_fp8 v[84:87], a[70:71], a[46:47], v[84:87]// 0000000042B8: D3F30054 1D525D46
	v_mfma_f32_16x16x32_fp8_fp8 v[96:99], a[72:73], a[40:41], v[96:99]// 0000000042C0: D3F30060 1D825148
	v_mfma_f32_16x16x32_fp8_fp8 v[96:99], a[74:75], a[42:43], v[96:99]// 0000000042C8: D3F30060 1D82554A
	v_mfma_f32_16x16x32_fp8_fp8 v[96:99], a[76:77], a[44:45], v[96:99]// 0000000042D0: D3F30060 1D82594C
	v_mfma_f32_16x16x32_fp8_fp8 v[96:99], a[78:79], a[46:47], v[96:99]// 0000000042D8: D3F30060 1D825D4E
	s_waitcnt vmcnt(14)                                        // 0000000042E0: BF8C0F7E
	s_barrier                                                  // 0000000042E4: BF8A0000
	v_mfma_f32_16x16x32_fp8_fp8 v[100:103], a[80:81], a[24:25], v[100:103]// 0000000042E8: D3F30064 1D923150
	v_mfma_f32_16x16x32_fp8_fp8 v[100:103], a[82:83], a[26:27], v[100:103]// 0000000042F0: D3F30064 1D923552
	buffer_load_dwordx4 a[48:51], v48, s[84:87], 0 offen       // 0000000042F8: E05C1000 80953030
	v_mfma_f32_16x16x32_fp8_fp8 v[100:103], a[84:85], a[28:29], v[100:103]// 000000004300: D3F30064 1D923954
	v_mfma_f32_16x16x32_fp8_fp8 v[100:103], a[86:87], a[30:31], v[100:103]// 000000004308: D3F30064 1D923D56
	ds_read_b128 a[0:3], v2 offset:6272                        // 000000004310: DBFE1880 00000002
	ds_read_b128 a[4:7], v2 offset:6336                        // 000000004318: DBFE18C0 04000002
	v_mfma_f32_16x16x32_fp8_fp8 v[112:115], a[88:89], a[24:25], v[112:115]// 000000004320: D3F30070 1DC23158
	v_mfma_f32_16x16x32_fp8_fp8 v[112:115], a[90:91], a[26:27], v[112:115]// 000000004328: D3F30070 1DC2355A
	buffer_load_dwordx4 a[52:55], v48, s[84:87], 0 offen offset:1024// 000000004330: E05C1400 80953430
	v_mfma_f32_16x16x32_fp8_fp8 v[112:115], a[92:93], a[28:29], v[112:115]// 000000004338: D3F30070 1DC2395C
	v_mfma_f32_16x16x32_fp8_fp8 v[112:115], a[94:95], a[30:31], v[112:115]// 000000004340: D3F30070 1DC23D5E
	ds_read_b128 a[8:11], v2 offset:6784                       // 000000004348: DBFE1A80 08000002
	ds_read_b128 a[12:15], v2 offset:6848                      // 000000004350: DBFE1AC0 0C000002
	v_mfma_f32_16x16x32_fp8_fp8 v[124:127], a[96:97], a[24:25], v[124:127]// 000000004358: D3F3007C 1DF23160
	v_mfma_f32_16x16x32_fp8_fp8 v[124:127], a[98:99], a[26:27], v[124:127]// 000000004360: D3F3007C 1DF23562
	buffer_load_dwordx4 a[56:59], v49, s[84:87], 0 offen       // 000000004368: E05C1000 80953831
	v_mfma_f32_16x16x32_fp8_fp8 v[124:127], a[100:101], a[28:29], v[124:127]// 000000004370: D3F3007C 1DF23964
	v_mfma_f32_16x16x32_fp8_fp8 v[124:127], a[102:103], a[30:31], v[124:127]// 000000004378: D3F3007C 1DF23D66
	ds_read_b128 a[16:19], v2 offset:7296                      // 000000004380: DBFE1C80 10000002
	ds_read_b128 a[20:23], v2 offset:7360                      // 000000004388: DBFE1CC0 14000002
	v_mfma_f32_16x16x32_fp8_fp8 v[136:139], a[104:105], a[24:25], v[136:139]// 000000004390: D3F30088 1E223168
	v_mfma_f32_16x16x32_fp8_fp8 v[136:139], a[106:107], a[26:27], v[136:139]// 000000004398: D3F30088 1E22356A
	buffer_load_dwordx4 a[60:63], v49, s[84:87], 0 offen offset:1024// 0000000043A0: E05C1400 80953C31
	v_mfma_f32_16x16x32_fp8_fp8 v[136:139], a[108:109], a[28:29], v[136:139]// 0000000043A8: D3F30088 1E22396C
	v_mfma_f32_16x16x32_fp8_fp8 v[136:139], a[110:111], a[30:31], v[136:139]// 0000000043B0: D3F30088 1E223D6E
	v_mfma_f32_16x16x32_fp8_fp8 v[104:107], a[80:81], a[32:33], v[104:107]// 0000000043B8: D3F30068 1DA24150
	v_mfma_f32_16x16x32_fp8_fp8 v[104:107], a[82:83], a[34:35], v[104:107]// 0000000043C0: D3F30068 1DA24552
	buffer_load_dwordx4 a[64:67], v50, s[84:87], 0 offen       // 0000000043C8: E05C1000 80954032
	v_mfma_f32_16x16x32_fp8_fp8 v[104:107], a[84:85], a[36:37], v[104:107]// 0000000043D0: D3F30068 1DA24954
	v_mfma_f32_16x16x32_fp8_fp8 v[104:107], a[86:87], a[38:39], v[104:107]// 0000000043D8: D3F30068 1DA24D56
	v_mfma_f32_16x16x32_fp8_fp8 v[116:119], a[88:89], a[32:33], v[116:119]// 0000000043E0: D3F30074 1DD24158
	v_mfma_f32_16x16x32_fp8_fp8 v[116:119], a[90:91], a[34:35], v[116:119]// 0000000043E8: D3F30074 1DD2455A
	buffer_load_dwordx4 a[68:71], v50, s[84:87], 0 offen offset:1024// 0000000043F0: E05C1400 80954432
	v_mfma_f32_16x16x32_fp8_fp8 v[116:119], a[92:93], a[36:37], v[116:119]// 0000000043F8: D3F30074 1DD2495C
	v_mfma_f32_16x16x32_fp8_fp8 v[116:119], a[94:95], a[38:39], v[116:119]// 000000004400: D3F30074 1DD24D5E
	v_mfma_f32_16x16x32_fp8_fp8 v[128:131], a[96:97], a[32:33], v[128:131]// 000000004408: D3F30080 1E024160
	v_mfma_f32_16x16x32_fp8_fp8 v[128:131], a[98:99], a[34:35], v[128:131]// 000000004410: D3F30080 1E024562
	buffer_load_dwordx4 a[72:75], v51, s[84:87], 0 offen       // 000000004418: E05C1000 80954833
	v_mfma_f32_16x16x32_fp8_fp8 v[128:131], a[100:101], a[36:37], v[128:131]// 000000004420: D3F30080 1E024964
	v_mfma_f32_16x16x32_fp8_fp8 v[128:131], a[102:103], a[38:39], v[128:131]// 000000004428: D3F30080 1E024D66
	v_mfma_f32_16x16x32_fp8_fp8 v[140:143], a[104:105], a[32:33], v[140:143]// 000000004430: D3F3008C 1E324168
	v_mfma_f32_16x16x32_fp8_fp8 v[140:143], a[106:107], a[34:35], v[140:143]// 000000004438: D3F3008C 1E32456A
	buffer_load_dwordx4 a[76:79], v51, s[84:87], 0 offen offset:1024// 000000004440: E05C1400 80954C33
	v_mfma_f32_16x16x32_fp8_fp8 v[140:143], a[108:109], a[36:37], v[140:143]// 000000004448: D3F3008C 1E32496C
	v_mfma_f32_16x16x32_fp8_fp8 v[140:143], a[110:111], a[38:39], v[140:143]// 000000004450: D3F3008C 1E324D6E
	v_mfma_f32_16x16x32_fp8_fp8 v[108:111], a[80:81], a[40:41], v[108:111]// 000000004458: D3F3006C 1DB25150
	v_mfma_f32_16x16x32_fp8_fp8 v[108:111], a[82:83], a[42:43], v[108:111]// 000000004460: D3F3006C 1DB25552
	v_mfma_f32_16x16x32_fp8_fp8 v[108:111], a[84:85], a[44:45], v[108:111]// 000000004468: D3F3006C 1DB25954
	v_mfma_f32_16x16x32_fp8_fp8 v[108:111], a[86:87], a[46:47], v[108:111]// 000000004470: D3F3006C 1DB25D56
	v_mfma_f32_16x16x32_fp8_fp8 v[120:123], a[88:89], a[40:41], v[120:123]// 000000004478: D3F30078 1DE25158
	v_mfma_f32_16x16x32_fp8_fp8 v[120:123], a[90:91], a[42:43], v[120:123]// 000000004480: D3F30078 1DE2555A
	v_mfma_f32_16x16x32_fp8_fp8 v[120:123], a[92:93], a[44:45], v[120:123]// 000000004488: D3F30078 1DE2595C
	v_mfma_f32_16x16x32_fp8_fp8 v[120:123], a[94:95], a[46:47], v[120:123]// 000000004490: D3F30078 1DE25D5E
	v_mfma_f32_16x16x32_fp8_fp8 v[132:135], a[96:97], a[40:41], v[132:135]// 000000004498: D3F30084 1E125160
	s_add_u32 s60, 0x180, s80                                  // 0000000044A0: 803C50FF 00000180
	s_cmp_lt_u32 s60, s81                                      // 0000000044A8: BF0A513C
	s_cselect_b32 s57, s57, 0                                  // 0000000044AC: 85398039
	v_mfma_f32_16x16x32_fp8_fp8 v[132:135], a[98:99], a[42:43], v[132:135]// 0000000044B0: D3F30084 1E125562
	s_add_u32 s60, 0x100, s80                                  // 0000000044B8: 803C50FF 00000100
	s_cmp_lt_u32 s60, s81                                      // 0000000044C0: BF0A513C
	s_cselect_b32 s58, s58, 0                                  // 0000000044C4: 853A803A
	v_mfma_f32_16x16x32_fp8_fp8 v[132:135], a[100:101], a[44:45], v[132:135]// 0000000044C8: D3F30084 1E125964
	s_add_u32 s60, 0x100, s80                                  // 0000000044D0: 803C50FF 00000100
	s_cmp_lt_u32 s60, s81                                      // 0000000044D8: BF0A513C
	s_cselect_b32 s83, s83, 0                                  // 0000000044DC: 85538053
	v_mfma_f32_16x16x32_fp8_fp8 v[132:135], a[102:103], a[46:47], v[132:135]// 0000000044E0: D3F30084 1E125D66
	s_add_u32 s24, s58, s24                                    // 0000000044E8: 8018183A
	s_addc_u32 s25, 0, s25                                     // 0000000044EC: 82191980
	v_mfma_f32_16x16x32_fp8_fp8 v[144:147], a[104:105], a[40:41], v[144:147]// 0000000044F0: D3F30090 1E425168
	s_add_u32 s20, s57, s20                                    // 0000000044F8: 80141439
	s_addc_u32 s21, 0, s21                                     // 0000000044FC: 82151580
	v_mfma_f32_16x16x32_fp8_fp8 v[144:147], a[106:107], a[42:43], v[144:147]// 000000004500: D3F30090 1E42556A
	s_add_u32 s84, s83, s84                                    // 000000004508: 80545453
	s_addc_u32 s85, 0, s85                                     // 00000000450C: 82555580
	v_mfma_f32_16x16x32_fp8_fp8 v[144:147], a[108:109], a[44:45], v[144:147]// 000000004510: D3F30090 1E42596C
	v_mfma_f32_16x16x32_fp8_fp8 v[144:147], a[110:111], a[46:47], v[144:147]// 000000004518: D3F30090 1E425D6E
	s_addk_i32 s80, 0x80                                       // 000000004520: B7500080
	s_cmp_lt_i32 s80, s81                                      // 000000004524: BF045150
	s_cbranch_scc0 label_0902                                  // 000000004528: BF840237
	s_waitcnt vmcnt(14) lgkmcnt(0)                             // 00000000452C: BF8C007E
	v_mfma_f32_16x16x32_fp8_fp8 v[52:55], a[112:113], a[0:1], v[52:55]// 000000004530: D3F30034 1CD20170
	v_mfma_f32_16x16x32_fp8_fp8 v[52:55], a[114:115], a[2:3], v[52:55]// 000000004538: D3F30034 1CD20572
	buffer_load_dwordx4 a[80:83], v48, s[24:27], 0 offen       // 000000004540: E05C1000 80865030
	v_mfma_f32_16x16x32_fp8_fp8 v[52:55], a[116:117], a[4:5], v[52:55]// 000000004548: D3F30034 1CD20974
	v_mfma_f32_16x16x32_fp8_fp8 v[52:55], a[118:119], a[6:7], v[52:55]// 000000004550: D3F30034 1CD20D76
	v_mfma_f32_16x16x32_fp8_fp8 v[64:67], a[120:121], a[0:1], v[64:67]// 000000004558: D3F30040 1D020178
	v_mfma_f32_16x16x32_fp8_fp8 v[64:67], a[122:123], a[2:3], v[64:67]// 000000004560: D3F30040 1D02057A
	buffer_load_dwordx4 a[84:87], v48, s[24:27], 0 offen offset:1024// 000000004568: E05C1400 80865430
	v_mfma_f32_16x16x32_fp8_fp8 v[64:67], a[124:125], a[4:5], v[64:67]// 000000004570: D3F30040 1D02097C
	v_mfma_f32_16x16x32_fp8_fp8 v[64:67], a[126:127], a[6:7], v[64:67]// 000000004578: D3F30040 1D020D7E
	v_mfma_f32_16x16x32_fp8_fp8 v[76:79], a[128:129], a[0:1], v[76:79]// 000000004580: D3F3004C 1D320180
	v_mfma_f32_16x16x32_fp8_fp8 v[76:79], a[130:131], a[2:3], v[76:79]// 000000004588: D3F3004C 1D320582
	buffer_load_dwordx4 a[88:91], v49, s[24:27], 0 offen       // 000000004590: E05C1000 80865831
	v_mfma_f32_16x16x32_fp8_fp8 v[76:79], a[132:133], a[4:5], v[76:79]// 000000004598: D3F3004C 1D320984
	v_mfma_f32_16x16x32_fp8_fp8 v[76:79], a[134:135], a[6:7], v[76:79]// 0000000045A0: D3F3004C 1D320D86
	v_mfma_f32_16x16x32_fp8_fp8 v[88:91], a[136:137], a[0:1], v[88:91]// 0000000045A8: D3F30058 1D620188
	v_mfma_f32_16x16x32_fp8_fp8 v[88:91], a[138:139], a[2:3], v[88:91]// 0000000045B0: D3F30058 1D62058A
	buffer_load_dwordx4 a[92:95], v49, s[24:27], 0 offen offset:1024// 0000000045B8: E05C1400 80865C31
	v_mfma_f32_16x16x32_fp8_fp8 v[88:91], a[140:141], a[4:5], v[88:91]// 0000000045C0: D3F30058 1D62098C
	v_mfma_f32_16x16x32_fp8_fp8 v[88:91], a[142:143], a[6:7], v[88:91]// 0000000045C8: D3F30058 1D620D8E
	v_mfma_f32_16x16x32_fp8_fp8 v[56:59], a[112:113], a[8:9], v[56:59]// 0000000045D0: D3F30038 1CE21170
	v_mfma_f32_16x16x32_fp8_fp8 v[56:59], a[114:115], a[10:11], v[56:59]// 0000000045D8: D3F30038 1CE21572
	buffer_load_dwordx4 a[96:99], v50, s[24:27], 0 offen       // 0000000045E0: E05C1000 80866032
	v_mfma_f32_16x16x32_fp8_fp8 v[56:59], a[116:117], a[12:13], v[56:59]// 0000000045E8: D3F30038 1CE21974
	v_mfma_f32_16x16x32_fp8_fp8 v[56:59], a[118:119], a[14:15], v[56:59]// 0000000045F0: D3F30038 1CE21D76
	v_mfma_f32_16x16x32_fp8_fp8 v[68:71], a[120:121], a[8:9], v[68:71]// 0000000045F8: D3F30044 1D121178
	v_mfma_f32_16x16x32_fp8_fp8 v[68:71], a[122:123], a[10:11], v[68:71]// 000000004600: D3F30044 1D12157A
	buffer_load_dwordx4 a[100:103], v50, s[24:27], 0 offen offset:1024// 000000004608: E05C1400 80866432
	v_mfma_f32_16x16x32_fp8_fp8 v[68:71], a[124:125], a[12:13], v[68:71]// 000000004610: D3F30044 1D12197C
	v_mfma_f32_16x16x32_fp8_fp8 v[68:71], a[126:127], a[14:15], v[68:71]// 000000004618: D3F30044 1D121D7E
	v_mfma_f32_16x16x32_fp8_fp8 v[80:83], a[128:129], a[8:9], v[80:83]// 000000004620: D3F30050 1D421180
	v_mfma_f32_16x16x32_fp8_fp8 v[80:83], a[130:131], a[10:11], v[80:83]// 000000004628: D3F30050 1D421582
	buffer_load_dwordx4 a[104:107], v51, s[24:27], 0 offen     // 000000004630: E05C1000 80866833
	v_mfma_f32_16x16x32_fp8_fp8 v[80:83], a[132:133], a[12:13], v[80:83]// 000000004638: D3F30050 1D421984
	v_mfma_f32_16x16x32_fp8_fp8 v[80:83], a[134:135], a[14:15], v[80:83]// 000000004640: D3F30050 1D421D86
	v_mfma_f32_16x16x32_fp8_fp8 v[92:95], a[136:137], a[8:9], v[92:95]// 000000004648: D3F3005C 1D721188
	v_mfma_f32_16x16x32_fp8_fp8 v[92:95], a[138:139], a[10:11], v[92:95]// 000000004650: D3F3005C 1D72158A
	buffer_load_dwordx4 a[108:111], v51, s[24:27], 0 offen offset:1024// 000000004658: E05C1400 80866C33
	buffer_load_dword v42, s[20:23], 0 offen lds               // 000000004660: E0511000 8005002A
	s_add_u32 m0, 0x100, s48                                   // 000000004668: 807C30FF 00000100
	v_mfma_f32_16x16x32_fp8_fp8 v[92:95], a[140:141], a[12:13], v[92:95]// 000000004670: D3F3005C 1D72198C
	v_mfma_f32_16x16x32_fp8_fp8 v[92:95], a[142:143], a[14:15], v[92:95]// 000000004678: D3F3005C 1D721D8E
	buffer_load_dword v43, s[20:23], 0 offen lds               // 000000004680: E0511000 8005002B
	s_add_u32 m0, 0x200, s48                                   // 000000004688: 807C30FF 00000200
	v_mfma_f32_16x16x32_fp8_fp8 v[60:63], a[112:113], a[16:17], v[60:63]// 000000004690: D3F3003C 1CF22170
	v_mfma_f32_16x16x32_fp8_fp8 v[60:63], a[114:115], a[18:19], v[60:63]// 000000004698: D3F3003C 1CF22572
	buffer_load_dword v44, s[20:23], 0 offen lds               // 0000000046A0: E0511000 8005002C
	s_add_u32 m0, 0x300, s48                                   // 0000000046A8: 807C30FF 00000300
	v_mfma_f32_16x16x32_fp8_fp8 v[60:63], a[116:117], a[20:21], v[60:63]// 0000000046B0: D3F3003C 1CF22974
	v_mfma_f32_16x16x32_fp8_fp8 v[60:63], a[118:119], a[22:23], v[60:63]// 0000000046B8: D3F3003C 1CF22D76
	buffer_load_dword v45, s[20:23], 0 offen lds               // 0000000046C0: E0511000 8005002D
	s_add_u32 m0, 0x400, s48                                   // 0000000046C8: 807C30FF 00000400
	v_mfma_f32_16x16x32_fp8_fp8 v[72:75], a[120:121], a[16:17], v[72:75]// 0000000046D0: D3F30048 1D222178
	v_mfma_f32_16x16x32_fp8_fp8 v[72:75], a[122:123], a[18:19], v[72:75]// 0000000046D8: D3F30048 1D22257A
	buffer_load_dword v46, s[20:23], 0 offen lds               // 0000000046E0: E0511000 8005002E
	s_add_u32 m0, 0x500, s48                                   // 0000000046E8: 807C30FF 00000500
	v_mfma_f32_16x16x32_fp8_fp8 v[72:75], a[124:125], a[20:21], v[72:75]// 0000000046F0: D3F30048 1D22297C
	v_mfma_f32_16x16x32_fp8_fp8 v[72:75], a[126:127], a[22:23], v[72:75]// 0000000046F8: D3F30048 1D222D7E
	buffer_load_dword v47, s[20:23], 0 offen lds               // 000000004700: E0511000 8005002F
	s_add_u32 m0, 0, s49                                       // 000000004708: 807C3180
	v_mfma_f32_16x16x32_fp8_fp8 v[84:87], a[128:129], a[16:17], v[84:87]// 00000000470C: D3F30054 1D522180
	v_mfma_f32_16x16x32_fp8_fp8 v[84:87], a[130:131], a[18:19], v[84:87]// 000000004714: D3F30054 1D522582
	v_mfma_f32_16x16x32_fp8_fp8 v[84:87], a[132:133], a[20:21], v[84:87]// 00000000471C: D3F30054 1D522984
	v_mfma_f32_16x16x32_fp8_fp8 v[84:87], a[134:135], a[22:23], v[84:87]// 000000004724: D3F30054 1D522D86
	v_mfma_f32_16x16x32_fp8_fp8 v[96:99], a[136:137], a[16:17], v[96:99]// 00000000472C: D3F30060 1D822188
	v_mfma_f32_16x16x32_fp8_fp8 v[96:99], a[138:139], a[18:19], v[96:99]// 000000004734: D3F30060 1D82258A
	v_mfma_f32_16x16x32_fp8_fp8 v[96:99], a[140:141], a[20:21], v[96:99]// 00000000473C: D3F30060 1D82298C
	v_mfma_f32_16x16x32_fp8_fp8 v[96:99], a[142:143], a[22:23], v[96:99]// 000000004744: D3F30060 1D822D8E
	s_waitcnt vmcnt(14)                                        // 00000000474C: BF8C0F7E
	s_barrier                                                  // 000000004750: BF8A0000
	v_mfma_f32_16x16x32_fp8_fp8 v[100:103], a[48:49], a[0:1], v[100:103]// 000000004754: D3F30064 1D920130
	v_mfma_f32_16x16x32_fp8_fp8 v[100:103], a[50:51], a[2:3], v[100:103]// 00000000475C: D3F30064 1D920532
	buffer_load_dwordx4 a[112:115], v48, s[84:87], 0 offen     // 000000004764: E05C1000 80957030
	v_mfma_f32_16x16x32_fp8_fp8 v[100:103], a[52:53], a[4:5], v[100:103]// 00000000476C: D3F30064 1D920934
	v_mfma_f32_16x16x32_fp8_fp8 v[100:103], a[54:55], a[6:7], v[100:103]// 000000004774: D3F30064 1D920D36
	ds_read_b128 a[24:27], v2 offset:12544                     // 00000000477C: DBFE3100 18000002
	ds_read_b128 a[28:31], v2 offset:12608                     // 000000004784: DBFE3140 1C000002
	v_mfma_f32_16x16x32_fp8_fp8 v[112:115], a[56:57], a[0:1], v[112:115]// 00000000478C: D3F30070 1DC20138
	v_mfma_f32_16x16x32_fp8_fp8 v[112:115], a[58:59], a[2:3], v[112:115]// 000000004794: D3F30070 1DC2053A
	buffer_load_dwordx4 a[116:119], v48, s[84:87], 0 offen offset:1024// 00000000479C: E05C1400 80957430
	v_mfma_f32_16x16x32_fp8_fp8 v[112:115], a[60:61], a[4:5], v[112:115]// 0000000047A4: D3F30070 1DC2093C
	v_mfma_f32_16x16x32_fp8_fp8 v[112:115], a[62:63], a[6:7], v[112:115]// 0000000047AC: D3F30070 1DC20D3E
	ds_read_b128 a[32:35], v2 offset:13056                     // 0000000047B4: DBFE3300 20000002
	ds_read_b128 a[36:39], v2 offset:13120                     // 0000000047BC: DBFE3340 24000002
	v_mfma_f32_16x16x32_fp8_fp8 v[124:127], a[64:65], a[0:1], v[124:127]// 0000000047C4: D3F3007C 1DF20140
	v_mfma_f32_16x16x32_fp8_fp8 v[124:127], a[66:67], a[2:3], v[124:127]// 0000000047CC: D3F3007C 1DF20542
	buffer_load_dwordx4 a[120:123], v49, s[84:87], 0 offen     // 0000000047D4: E05C1000 80957831
	v_mfma_f32_16x16x32_fp8_fp8 v[124:127], a[68:69], a[4:5], v[124:127]// 0000000047DC: D3F3007C 1DF20944
	v_mfma_f32_16x16x32_fp8_fp8 v[124:127], a[70:71], a[6:7], v[124:127]// 0000000047E4: D3F3007C 1DF20D46
	ds_read_b128 a[40:43], v2 offset:13568                     // 0000000047EC: DBFE3500 28000002
	ds_read_b128 a[44:47], v2 offset:13632                     // 0000000047F4: DBFE3540 2C000002
	v_mfma_f32_16x16x32_fp8_fp8 v[136:139], a[72:73], a[0:1], v[136:139]// 0000000047FC: D3F30088 1E220148
	v_mfma_f32_16x16x32_fp8_fp8 v[136:139], a[74:75], a[2:3], v[136:139]// 000000004804: D3F30088 1E22054A
	buffer_load_dwordx4 a[124:127], v49, s[84:87], 0 offen offset:1024// 00000000480C: E05C1400 80957C31
	v_mfma_f32_16x16x32_fp8_fp8 v[136:139], a[76:77], a[4:5], v[136:139]// 000000004814: D3F30088 1E22094C
	v_mfma_f32_16x16x32_fp8_fp8 v[136:139], a[78:79], a[6:7], v[136:139]// 00000000481C: D3F30088 1E220D4E
	v_mfma_f32_16x16x32_fp8_fp8 v[104:107], a[48:49], a[8:9], v[104:107]// 000000004824: D3F30068 1DA21130
	v_mfma_f32_16x16x32_fp8_fp8 v[104:107], a[50:51], a[10:11], v[104:107]// 00000000482C: D3F30068 1DA21532
	buffer_load_dwordx4 a[128:131], v50, s[84:87], 0 offen     // 000000004834: E05C1000 80958032
	v_mfma_f32_16x16x32_fp8_fp8 v[104:107], a[52:53], a[12:13], v[104:107]// 00000000483C: D3F30068 1DA21934
	v_mfma_f32_16x16x32_fp8_fp8 v[104:107], a[54:55], a[14:15], v[104:107]// 000000004844: D3F30068 1DA21D36
	v_mfma_f32_16x16x32_fp8_fp8 v[116:119], a[56:57], a[8:9], v[116:119]// 00000000484C: D3F30074 1DD21138
	v_mfma_f32_16x16x32_fp8_fp8 v[116:119], a[58:59], a[10:11], v[116:119]// 000000004854: D3F30074 1DD2153A
	buffer_load_dwordx4 a[132:135], v50, s[84:87], 0 offen offset:1024// 00000000485C: E05C1400 80958432
	v_mfma_f32_16x16x32_fp8_fp8 v[116:119], a[60:61], a[12:13], v[116:119]// 000000004864: D3F30074 1DD2193C
	v_mfma_f32_16x16x32_fp8_fp8 v[116:119], a[62:63], a[14:15], v[116:119]// 00000000486C: D3F30074 1DD21D3E
	v_mfma_f32_16x16x32_fp8_fp8 v[128:131], a[64:65], a[8:9], v[128:131]// 000000004874: D3F30080 1E021140
	v_mfma_f32_16x16x32_fp8_fp8 v[128:131], a[66:67], a[10:11], v[128:131]// 00000000487C: D3F30080 1E021542
	buffer_load_dwordx4 a[136:139], v51, s[84:87], 0 offen     // 000000004884: E05C1000 80958833
	v_mfma_f32_16x16x32_fp8_fp8 v[128:131], a[68:69], a[12:13], v[128:131]// 00000000488C: D3F30080 1E021944
	v_mfma_f32_16x16x32_fp8_fp8 v[128:131], a[70:71], a[14:15], v[128:131]// 000000004894: D3F30080 1E021D46
	v_mfma_f32_16x16x32_fp8_fp8 v[140:143], a[72:73], a[8:9], v[140:143]// 00000000489C: D3F3008C 1E321148
	v_mfma_f32_16x16x32_fp8_fp8 v[140:143], a[74:75], a[10:11], v[140:143]// 0000000048A4: D3F3008C 1E32154A
	buffer_load_dwordx4 a[140:143], v51, s[84:87], 0 offen offset:1024// 0000000048AC: E05C1400 80958C33
	v_mfma_f32_16x16x32_fp8_fp8 v[140:143], a[76:77], a[12:13], v[140:143]// 0000000048B4: D3F3008C 1E32194C
	v_mfma_f32_16x16x32_fp8_fp8 v[140:143], a[78:79], a[14:15], v[140:143]// 0000000048BC: D3F3008C 1E321D4E
	v_mfma_f32_16x16x32_fp8_fp8 v[108:111], a[48:49], a[16:17], v[108:111]// 0000000048C4: D3F3006C 1DB22130
	v_mfma_f32_16x16x32_fp8_fp8 v[108:111], a[50:51], a[18:19], v[108:111]// 0000000048CC: D3F3006C 1DB22532
	v_mfma_f32_16x16x32_fp8_fp8 v[108:111], a[52:53], a[20:21], v[108:111]// 0000000048D4: D3F3006C 1DB22934
	v_mfma_f32_16x16x32_fp8_fp8 v[108:111], a[54:55], a[22:23], v[108:111]// 0000000048DC: D3F3006C 1DB22D36
	v_mfma_f32_16x16x32_fp8_fp8 v[120:123], a[56:57], a[16:17], v[120:123]// 0000000048E4: D3F30078 1DE22138
	v_mfma_f32_16x16x32_fp8_fp8 v[120:123], a[58:59], a[18:19], v[120:123]// 0000000048EC: D3F30078 1DE2253A
	v_mfma_f32_16x16x32_fp8_fp8 v[120:123], a[60:61], a[20:21], v[120:123]// 0000000048F4: D3F30078 1DE2293C
	v_mfma_f32_16x16x32_fp8_fp8 v[120:123], a[62:63], a[22:23], v[120:123]// 0000000048FC: D3F30078 1DE22D3E
	v_mfma_f32_16x16x32_fp8_fp8 v[132:135], a[64:65], a[16:17], v[132:135]// 000000004904: D3F30084 1E122140
	s_add_u32 s60, 0x180, s80                                  // 00000000490C: 803C50FF 00000180
	s_cmp_lt_u32 s60, s81                                      // 000000004914: BF0A513C
	s_cselect_b32 s57, s57, 0                                  // 000000004918: 85398039
	v_mfma_f32_16x16x32_fp8_fp8 v[132:135], a[66:67], a[18:19], v[132:135]// 00000000491C: D3F30084 1E122542
	s_add_u32 s60, 0x100, s80                                  // 000000004924: 803C50FF 00000100
	s_cmp_lt_u32 s60, s81                                      // 00000000492C: BF0A513C
	s_cselect_b32 s58, s58, 0                                  // 000000004930: 853A803A
	v_mfma_f32_16x16x32_fp8_fp8 v[132:135], a[68:69], a[20:21], v[132:135]// 000000004934: D3F30084 1E122944
	s_add_u32 s60, 0x100, s80                                  // 00000000493C: 803C50FF 00000100
	s_cmp_lt_u32 s60, s81                                      // 000000004944: BF0A513C
	s_cselect_b32 s83, s83, 0                                  // 000000004948: 85538053
	v_mfma_f32_16x16x32_fp8_fp8 v[132:135], a[70:71], a[22:23], v[132:135]// 00000000494C: D3F30084 1E122D46
	s_add_u32 s24, s58, s24                                    // 000000004954: 8018183A
	s_addc_u32 s25, 0, s25                                     // 000000004958: 82191980
	v_mfma_f32_16x16x32_fp8_fp8 v[144:147], a[72:73], a[16:17], v[144:147]// 00000000495C: D3F30090 1E422148
	s_add_u32 s20, s57, s20                                    // 000000004964: 80141439
	s_addc_u32 s21, 0, s21                                     // 000000004968: 82151580
	v_mfma_f32_16x16x32_fp8_fp8 v[144:147], a[74:75], a[18:19], v[144:147]// 00000000496C: D3F30090 1E42254A
	s_add_u32 s84, s83, s84                                    // 000000004974: 80545453
	s_addc_u32 s85, 0, s85                                     // 000000004978: 82555580
	v_mfma_f32_16x16x32_fp8_fp8 v[144:147], a[76:77], a[20:21], v[144:147]// 00000000497C: D3F30090 1E42294C
	v_mfma_f32_16x16x32_fp8_fp8 v[144:147], a[78:79], a[22:23], v[144:147]// 000000004984: D3F30090 1E422D4E
	s_addk_i32 s80, 0x80                                       // 00000000498C: B7500080
	s_cmp_lt_i32 s80, s81                                      // 000000004990: BF045150
	s_cbranch_scc0 label_0902                                  // 000000004994: BF84011C
	s_waitcnt vmcnt(14) lgkmcnt(0)                             // 000000004998: BF8C007E
	v_mfma_f32_16x16x32_fp8_fp8 v[52:55], a[80:81], a[24:25], v[52:55]// 00000000499C: D3F30034 1CD23150
	v_mfma_f32_16x16x32_fp8_fp8 v[52:55], a[82:83], a[26:27], v[52:55]// 0000000049A4: D3F30034 1CD23552
	buffer_load_dwordx4 a[48:51], v48, s[24:27], 0 offen       // 0000000049AC: E05C1000 80863030
	v_mfma_f32_16x16x32_fp8_fp8 v[52:55], a[84:85], a[28:29], v[52:55]// 0000000049B4: D3F30034 1CD23954
	v_mfma_f32_16x16x32_fp8_fp8 v[52:55], a[86:87], a[30:31], v[52:55]// 0000000049BC: D3F30034 1CD23D56
	v_mfma_f32_16x16x32_fp8_fp8 v[64:67], a[88:89], a[24:25], v[64:67]// 0000000049C4: D3F30040 1D023158
	v_mfma_f32_16x16x32_fp8_fp8 v[64:67], a[90:91], a[26:27], v[64:67]// 0000000049CC: D3F30040 1D02355A
	buffer_load_dwordx4 a[52:55], v48, s[24:27], 0 offen offset:1024// 0000000049D4: E05C1400 80863430
	v_mfma_f32_16x16x32_fp8_fp8 v[64:67], a[92:93], a[28:29], v[64:67]// 0000000049DC: D3F30040 1D02395C
	v_mfma_f32_16x16x32_fp8_fp8 v[64:67], a[94:95], a[30:31], v[64:67]// 0000000049E4: D3F30040 1D023D5E
	v_mfma_f32_16x16x32_fp8_fp8 v[76:79], a[96:97], a[24:25], v[76:79]// 0000000049EC: D3F3004C 1D323160
	v_mfma_f32_16x16x32_fp8_fp8 v[76:79], a[98:99], a[26:27], v[76:79]// 0000000049F4: D3F3004C 1D323562
	buffer_load_dwordx4 a[56:59], v49, s[24:27], 0 offen       // 0000000049FC: E05C1000 80863831
	v_mfma_f32_16x16x32_fp8_fp8 v[76:79], a[100:101], a[28:29], v[76:79]// 000000004A04: D3F3004C 1D323964
	v_mfma_f32_16x16x32_fp8_fp8 v[76:79], a[102:103], a[30:31], v[76:79]// 000000004A0C: D3F3004C 1D323D66
	v_mfma_f32_16x16x32_fp8_fp8 v[88:91], a[104:105], a[24:25], v[88:91]// 000000004A14: D3F30058 1D623168
	v_mfma_f32_16x16x32_fp8_fp8 v[88:91], a[106:107], a[26:27], v[88:91]// 000000004A1C: D3F30058 1D62356A
	buffer_load_dwordx4 a[60:63], v49, s[24:27], 0 offen offset:1024// 000000004A24: E05C1400 80863C31
	v_mfma_f32_16x16x32_fp8_fp8 v[88:91], a[108:109], a[28:29], v[88:91]// 000000004A2C: D3F30058 1D62396C
	v_mfma_f32_16x16x32_fp8_fp8 v[88:91], a[110:111], a[30:31], v[88:91]// 000000004A34: D3F30058 1D623D6E
	v_mfma_f32_16x16x32_fp8_fp8 v[56:59], a[80:81], a[32:33], v[56:59]// 000000004A3C: D3F30038 1CE24150
	v_mfma_f32_16x16x32_fp8_fp8 v[56:59], a[82:83], a[34:35], v[56:59]// 000000004A44: D3F30038 1CE24552
	buffer_load_dwordx4 a[64:67], v50, s[24:27], 0 offen       // 000000004A4C: E05C1000 80864032
	v_mfma_f32_16x16x32_fp8_fp8 v[56:59], a[84:85], a[36:37], v[56:59]// 000000004A54: D3F30038 1CE24954
	v_mfma_f32_16x16x32_fp8_fp8 v[56:59], a[86:87], a[38:39], v[56:59]// 000000004A5C: D3F30038 1CE24D56
	v_mfma_f32_16x16x32_fp8_fp8 v[68:71], a[88:89], a[32:33], v[68:71]// 000000004A64: D3F30044 1D124158
	v_mfma_f32_16x16x32_fp8_fp8 v[68:71], a[90:91], a[34:35], v[68:71]// 000000004A6C: D3F30044 1D12455A
	buffer_load_dwordx4 a[68:71], v50, s[24:27], 0 offen offset:1024// 000000004A74: E05C1400 80864432
	v_mfma_f32_16x16x32_fp8_fp8 v[68:71], a[92:93], a[36:37], v[68:71]// 000000004A7C: D3F30044 1D12495C
	v_mfma_f32_16x16x32_fp8_fp8 v[68:71], a[94:95], a[38:39], v[68:71]// 000000004A84: D3F30044 1D124D5E
	v_mfma_f32_16x16x32_fp8_fp8 v[80:83], a[96:97], a[32:33], v[80:83]// 000000004A8C: D3F30050 1D424160
	v_mfma_f32_16x16x32_fp8_fp8 v[80:83], a[98:99], a[34:35], v[80:83]// 000000004A94: D3F30050 1D424562
	buffer_load_dwordx4 a[72:75], v51, s[24:27], 0 offen       // 000000004A9C: E05C1000 80864833
	v_mfma_f32_16x16x32_fp8_fp8 v[80:83], a[100:101], a[36:37], v[80:83]// 000000004AA4: D3F30050 1D424964
	v_mfma_f32_16x16x32_fp8_fp8 v[80:83], a[102:103], a[38:39], v[80:83]// 000000004AAC: D3F30050 1D424D66
	v_mfma_f32_16x16x32_fp8_fp8 v[92:95], a[104:105], a[32:33], v[92:95]// 000000004AB4: D3F3005C 1D724168
	v_mfma_f32_16x16x32_fp8_fp8 v[92:95], a[106:107], a[34:35], v[92:95]// 000000004ABC: D3F3005C 1D72456A
	buffer_load_dwordx4 a[76:79], v51, s[24:27], 0 offen offset:1024// 000000004AC4: E05C1400 80864C33
	buffer_load_dword v42, s[20:23], 0 offen lds               // 000000004ACC: E0511000 8005002A
	s_add_u32 m0, 0x100, s49                                   // 000000004AD4: 807C31FF 00000100
	v_mfma_f32_16x16x32_fp8_fp8 v[92:95], a[108:109], a[36:37], v[92:95]// 000000004ADC: D3F3005C 1D72496C
	v_mfma_f32_16x16x32_fp8_fp8 v[92:95], a[110:111], a[38:39], v[92:95]// 000000004AE4: D3F3005C 1D724D6E
	buffer_load_dword v43, s[20:23], 0 offen lds               // 000000004AEC: E0511000 8005002B
	s_add_u32 m0, 0x200, s49                                   // 000000004AF4: 807C31FF 00000200
	v_mfma_f32_16x16x32_fp8_fp8 v[60:63], a[80:81], a[40:41], v[60:63]// 000000004AFC: D3F3003C 1CF25150
	v_mfma_f32_16x16x32_fp8_fp8 v[60:63], a[82:83], a[42:43], v[60:63]// 000000004B04: D3F3003C 1CF25552
	buffer_load_dword v44, s[20:23], 0 offen lds               // 000000004B0C: E0511000 8005002C
	s_add_u32 m0, 0x300, s49                                   // 000000004B14: 807C31FF 00000300
	v_mfma_f32_16x16x32_fp8_fp8 v[60:63], a[84:85], a[44:45], v[60:63]// 000000004B1C: D3F3003C 1CF25954
	v_mfma_f32_16x16x32_fp8_fp8 v[60:63], a[86:87], a[46:47], v[60:63]// 000000004B24: D3F3003C 1CF25D56
	buffer_load_dword v45, s[20:23], 0 offen lds               // 000000004B2C: E0511000 8005002D
	s_add_u32 m0, 0x400, s49                                   // 000000004B34: 807C31FF 00000400
	v_mfma_f32_16x16x32_fp8_fp8 v[72:75], a[88:89], a[40:41], v[72:75]// 000000004B3C: D3F30048 1D225158
	v_mfma_f32_16x16x32_fp8_fp8 v[72:75], a[90:91], a[42:43], v[72:75]// 000000004B44: D3F30048 1D22555A
	buffer_load_dword v46, s[20:23], 0 offen lds               // 000000004B4C: E0511000 8005002E
	s_add_u32 m0, 0x500, s49                                   // 000000004B54: 807C31FF 00000500
	v_mfma_f32_16x16x32_fp8_fp8 v[72:75], a[92:93], a[44:45], v[72:75]// 000000004B5C: D3F30048 1D22595C
	v_mfma_f32_16x16x32_fp8_fp8 v[72:75], a[94:95], a[46:47], v[72:75]// 000000004B64: D3F30048 1D225D5E
	buffer_load_dword v47, s[20:23], 0 offen lds               // 000000004B6C: E0511000 8005002F
	s_add_u32 m0, 0, s50                                       // 000000004B74: 807C3280
	v_mfma_f32_16x16x32_fp8_fp8 v[84:87], a[96:97], a[40:41], v[84:87]// 000000004B78: D3F30054 1D525160
	v_mfma_f32_16x16x32_fp8_fp8 v[84:87], a[98:99], a[42:43], v[84:87]// 000000004B80: D3F30054 1D525562
	v_mfma_f32_16x16x32_fp8_fp8 v[84:87], a[100:101], a[44:45], v[84:87]// 000000004B88: D3F30054 1D525964
	v_mfma_f32_16x16x32_fp8_fp8 v[84:87], a[102:103], a[46:47], v[84:87]// 000000004B90: D3F30054 1D525D66
	v_mfma_f32_16x16x32_fp8_fp8 v[96:99], a[104:105], a[40:41], v[96:99]// 000000004B98: D3F30060 1D825168
	v_mfma_f32_16x16x32_fp8_fp8 v[96:99], a[106:107], a[42:43], v[96:99]// 000000004BA0: D3F30060 1D82556A
	v_mfma_f32_16x16x32_fp8_fp8 v[96:99], a[108:109], a[44:45], v[96:99]// 000000004BA8: D3F30060 1D82596C
	v_mfma_f32_16x16x32_fp8_fp8 v[96:99], a[110:111], a[46:47], v[96:99]// 000000004BB0: D3F30060 1D825D6E
	s_waitcnt vmcnt(14)                                        // 000000004BB8: BF8C0F7E
	s_barrier                                                  // 000000004BBC: BF8A0000
	v_mfma_f32_16x16x32_fp8_fp8 v[100:103], a[112:113], a[24:25], v[100:103]// 000000004BC0: D3F30064 1D923170
	v_mfma_f32_16x16x32_fp8_fp8 v[100:103], a[114:115], a[26:27], v[100:103]// 000000004BC8: D3F30064 1D923572
	buffer_load_dwordx4 a[80:83], v48, s[84:87], 0 offen       // 000000004BD0: E05C1000 80955030
	v_mfma_f32_16x16x32_fp8_fp8 v[100:103], a[116:117], a[28:29], v[100:103]// 000000004BD8: D3F30064 1D923974
	v_mfma_f32_16x16x32_fp8_fp8 v[100:103], a[118:119], a[30:31], v[100:103]// 000000004BE0: D3F30064 1D923D76
	ds_read_b128 a[0:3], v2                                    // 000000004BE8: DBFE0000 00000002
	ds_read_b128 a[4:7], v2 offset:64                          // 000000004BF0: DBFE0040 04000002
	v_mfma_f32_16x16x32_fp8_fp8 v[112:115], a[120:121], a[24:25], v[112:115]// 000000004BF8: D3F30070 1DC23178
	v_mfma_f32_16x16x32_fp8_fp8 v[112:115], a[122:123], a[26:27], v[112:115]// 000000004C00: D3F30070 1DC2357A
	buffer_load_dwordx4 a[84:87], v48, s[84:87], 0 offen offset:1024// 000000004C08: E05C1400 80955430
	v_mfma_f32_16x16x32_fp8_fp8 v[112:115], a[124:125], a[28:29], v[112:115]// 000000004C10: D3F30070 1DC2397C
	v_mfma_f32_16x16x32_fp8_fp8 v[112:115], a[126:127], a[30:31], v[112:115]// 000000004C18: D3F30070 1DC23D7E
	ds_read_b128 a[8:11], v2 offset:512                        // 000000004C20: DBFE0200 08000002
	ds_read_b128 a[12:15], v2 offset:576                       // 000000004C28: DBFE0240 0C000002
	v_mfma_f32_16x16x32_fp8_fp8 v[124:127], a[128:129], a[24:25], v[124:127]// 000000004C30: D3F3007C 1DF23180
	v_mfma_f32_16x16x32_fp8_fp8 v[124:127], a[130:131], a[26:27], v[124:127]// 000000004C38: D3F3007C 1DF23582
	buffer_load_dwordx4 a[88:91], v49, s[84:87], 0 offen       // 000000004C40: E05C1000 80955831
	v_mfma_f32_16x16x32_fp8_fp8 v[124:127], a[132:133], a[28:29], v[124:127]// 000000004C48: D3F3007C 1DF23984
	v_mfma_f32_16x16x32_fp8_fp8 v[124:127], a[134:135], a[30:31], v[124:127]// 000000004C50: D3F3007C 1DF23D86
	ds_read_b128 a[16:19], v2 offset:1024                      // 000000004C58: DBFE0400 10000002
	ds_read_b128 a[20:23], v2 offset:1088                      // 000000004C60: DBFE0440 14000002
	v_mfma_f32_16x16x32_fp8_fp8 v[136:139], a[136:137], a[24:25], v[136:139]// 000000004C68: D3F30088 1E223188
	v_mfma_f32_16x16x32_fp8_fp8 v[136:139], a[138:139], a[26:27], v[136:139]// 000000004C70: D3F30088 1E22358A
	buffer_load_dwordx4 a[92:95], v49, s[84:87], 0 offen offset:1024// 000000004C78: E05C1400 80955C31
	v_mfma_f32_16x16x32_fp8_fp8 v[136:139], a[140:141], a[28:29], v[136:139]// 000000004C80: D3F30088 1E22398C
	v_mfma_f32_16x16x32_fp8_fp8 v[136:139], a[142:143], a[30:31], v[136:139]// 000000004C88: D3F30088 1E223D8E
	v_mfma_f32_16x16x32_fp8_fp8 v[104:107], a[112:113], a[32:33], v[104:107]// 000000004C90: D3F30068 1DA24170
	v_mfma_f32_16x16x32_fp8_fp8 v[104:107], a[114:115], a[34:35], v[104:107]// 000000004C98: D3F30068 1DA24572
	buffer_load_dwordx4 a[96:99], v50, s[84:87], 0 offen       // 000000004CA0: E05C1000 80956032
	v_mfma_f32_16x16x32_fp8_fp8 v[104:107], a[116:117], a[36:37], v[104:107]// 000000004CA8: D3F30068 1DA24974
	v_mfma_f32_16x16x32_fp8_fp8 v[104:107], a[118:119], a[38:39], v[104:107]// 000000004CB0: D3F30068 1DA24D76
	v_mfma_f32_16x16x32_fp8_fp8 v[116:119], a[120:121], a[32:33], v[116:119]// 000000004CB8: D3F30074 1DD24178
	v_mfma_f32_16x16x32_fp8_fp8 v[116:119], a[122:123], a[34:35], v[116:119]// 000000004CC0: D3F30074 1DD2457A
	buffer_load_dwordx4 a[100:103], v50, s[84:87], 0 offen offset:1024// 000000004CC8: E05C1400 80956432
	v_mfma_f32_16x16x32_fp8_fp8 v[116:119], a[124:125], a[36:37], v[116:119]// 000000004CD0: D3F30074 1DD2497C
	v_mfma_f32_16x16x32_fp8_fp8 v[116:119], a[126:127], a[38:39], v[116:119]// 000000004CD8: D3F30074 1DD24D7E
	v_mfma_f32_16x16x32_fp8_fp8 v[128:131], a[128:129], a[32:33], v[128:131]// 000000004CE0: D3F30080 1E024180
	v_mfma_f32_16x16x32_fp8_fp8 v[128:131], a[130:131], a[34:35], v[128:131]// 000000004CE8: D3F30080 1E024582
	buffer_load_dwordx4 a[104:107], v51, s[84:87], 0 offen     // 000000004CF0: E05C1000 80956833
	v_mfma_f32_16x16x32_fp8_fp8 v[128:131], a[132:133], a[36:37], v[128:131]// 000000004CF8: D3F30080 1E024984
	v_mfma_f32_16x16x32_fp8_fp8 v[128:131], a[134:135], a[38:39], v[128:131]// 000000004D00: D3F30080 1E024D86
	v_mfma_f32_16x16x32_fp8_fp8 v[140:143], a[136:137], a[32:33], v[140:143]// 000000004D08: D3F3008C 1E324188
	v_mfma_f32_16x16x32_fp8_fp8 v[140:143], a[138:139], a[34:35], v[140:143]// 000000004D10: D3F3008C 1E32458A
	buffer_load_dwordx4 a[108:111], v51, s[84:87], 0 offen offset:1024// 000000004D18: E05C1400 80956C33
	v_mfma_f32_16x16x32_fp8_fp8 v[140:143], a[140:141], a[36:37], v[140:143]// 000000004D20: D3F3008C 1E32498C
	v_mfma_f32_16x16x32_fp8_fp8 v[140:143], a[142:143], a[38:39], v[140:143]// 000000004D28: D3F3008C 1E324D8E
	v_mfma_f32_16x16x32_fp8_fp8 v[108:111], a[112:113], a[40:41], v[108:111]// 000000004D30: D3F3006C 1DB25170
	v_mfma_f32_16x16x32_fp8_fp8 v[108:111], a[114:115], a[42:43], v[108:111]// 000000004D38: D3F3006C 1DB25572
	v_mfma_f32_16x16x32_fp8_fp8 v[108:111], a[116:117], a[44:45], v[108:111]// 000000004D40: D3F3006C 1DB25974
	v_mfma_f32_16x16x32_fp8_fp8 v[108:111], a[118:119], a[46:47], v[108:111]// 000000004D48: D3F3006C 1DB25D76
	v_mfma_f32_16x16x32_fp8_fp8 v[120:123], a[120:121], a[40:41], v[120:123]// 000000004D50: D3F30078 1DE25178
	v_mfma_f32_16x16x32_fp8_fp8 v[120:123], a[122:123], a[42:43], v[120:123]// 000000004D58: D3F30078 1DE2557A
	v_mfma_f32_16x16x32_fp8_fp8 v[120:123], a[124:125], a[44:45], v[120:123]// 000000004D60: D3F30078 1DE2597C
	v_mfma_f32_16x16x32_fp8_fp8 v[120:123], a[126:127], a[46:47], v[120:123]// 000000004D68: D3F30078 1DE25D7E
	v_mfma_f32_16x16x32_fp8_fp8 v[132:135], a[128:129], a[40:41], v[132:135]// 000000004D70: D3F30084 1E125180
	s_add_u32 s60, 0x180, s80                                  // 000000004D78: 803C50FF 00000180
	s_cmp_lt_u32 s60, s81                                      // 000000004D80: BF0A513C
	s_cselect_b32 s57, s57, 0                                  // 000000004D84: 85398039
	v_mfma_f32_16x16x32_fp8_fp8 v[132:135], a[130:131], a[42:43], v[132:135]// 000000004D88: D3F30084 1E125582
	s_add_u32 s60, 0x100, s80                                  // 000000004D90: 803C50FF 00000100
	s_cmp_lt_u32 s60, s81                                      // 000000004D98: BF0A513C
	s_cselect_b32 s58, s58, 0                                  // 000000004D9C: 853A803A
	v_mfma_f32_16x16x32_fp8_fp8 v[132:135], a[132:133], a[44:45], v[132:135]// 000000004DA0: D3F30084 1E125984
	s_add_u32 s60, 0x100, s80                                  // 000000004DA8: 803C50FF 00000100
	s_cmp_lt_u32 s60, s81                                      // 000000004DB0: BF0A513C
	s_cselect_b32 s83, s83, 0                                  // 000000004DB4: 85538053
	v_mfma_f32_16x16x32_fp8_fp8 v[132:135], a[134:135], a[46:47], v[132:135]// 000000004DB8: D3F30084 1E125D86
	s_add_u32 s24, s58, s24                                    // 000000004DC0: 8018183A
	s_addc_u32 s25, 0, s25                                     // 000000004DC4: 82191980
	v_mfma_f32_16x16x32_fp8_fp8 v[144:147], a[136:137], a[40:41], v[144:147]// 000000004DC8: D3F30090 1E425188
	s_add_u32 s20, s57, s20                                    // 000000004DD0: 80141439
	s_addc_u32 s21, 0, s21                                     // 000000004DD4: 82151580
	v_mfma_f32_16x16x32_fp8_fp8 v[144:147], a[138:139], a[42:43], v[144:147]// 000000004DD8: D3F30090 1E42558A
	s_add_u32 s84, s83, s84                                    // 000000004DE0: 80545453
	s_addc_u32 s85, 0, s85                                     // 000000004DE4: 82555580
	v_mfma_f32_16x16x32_fp8_fp8 v[144:147], a[140:141], a[44:45], v[144:147]// 000000004DE8: D3F30090 1E42598C
	v_mfma_f32_16x16x32_fp8_fp8 v[144:147], a[142:143], a[46:47], v[144:147]// 000000004DF0: D3F30090 1E425D8E
	s_addk_i32 s80, 0x80                                       // 000000004DF8: B7500080
	s_cmp_lt_i32 s80, s81                                      // 000000004DFC: BF045150
	s_cbranch_scc0 label_0902                                  // 000000004E00: BF840001
	s_branch label_025F                                        // 000000004E04: BF82F95D

0000000000004e08 <label_0902>:
	v_mul_f32_dpp v52, v24, v52 row_newbcast:0 row_mask:0xf bank_mask:0xf// 000000004E08: 0A6868FA FF015018
	v_mul_f32_dpp v53, v24, v53 row_newbcast:1 row_mask:0xf bank_mask:0xf// 000000004E10: 0A6A6AFA FF015118
	v_mul_f32_dpp v54, v24, v54 row_newbcast:2 row_mask:0xf bank_mask:0xf// 000000004E18: 0A6C6CFA FF015218
	v_mul_f32_dpp v55, v24, v55 row_newbcast:3 row_mask:0xf bank_mask:0xf// 000000004E20: 0A6E6EFA FF015318
	v_mul_f32_dpp v56, v24, v56 row_newbcast:0 row_mask:0xf bank_mask:0xf// 000000004E28: 0A7070FA FF015018
	v_mul_f32_dpp v57, v24, v57 row_newbcast:1 row_mask:0xf bank_mask:0xf// 000000004E30: 0A7272FA FF015118
	v_mul_f32_dpp v58, v24, v58 row_newbcast:2 row_mask:0xf bank_mask:0xf// 000000004E38: 0A7474FA FF015218
	v_mul_f32_dpp v59, v24, v59 row_newbcast:3 row_mask:0xf bank_mask:0xf// 000000004E40: 0A7676FA FF015318
	v_mul_f32_dpp v60, v24, v60 row_newbcast:0 row_mask:0xf bank_mask:0xf// 000000004E48: 0A7878FA FF015018
	v_mul_f32_dpp v61, v24, v61 row_newbcast:1 row_mask:0xf bank_mask:0xf// 000000004E50: 0A7A7AFA FF015118
	v_mul_f32_dpp v62, v24, v62 row_newbcast:2 row_mask:0xf bank_mask:0xf// 000000004E58: 0A7C7CFA FF015218
	v_mul_f32_dpp v63, v24, v63 row_newbcast:3 row_mask:0xf bank_mask:0xf// 000000004E60: 0A7E7EFA FF015318
	v_mul_f32_dpp v64, v24, v64 row_newbcast:4 row_mask:0xf bank_mask:0xf// 000000004E68: 0A8080FA FF015418
	v_mul_f32_dpp v65, v24, v65 row_newbcast:5 row_mask:0xf bank_mask:0xf// 000000004E70: 0A8282FA FF015518
	v_mul_f32_dpp v66, v24, v66 row_newbcast:6 row_mask:0xf bank_mask:0xf// 000000004E78: 0A8484FA FF015618
	v_mul_f32_dpp v67, v24, v67 row_newbcast:7 row_mask:0xf bank_mask:0xf// 000000004E80: 0A8686FA FF015718
	v_mul_f32_dpp v68, v24, v68 row_newbcast:4 row_mask:0xf bank_mask:0xf// 000000004E88: 0A8888FA FF015418
	v_mul_f32_dpp v69, v24, v69 row_newbcast:5 row_mask:0xf bank_mask:0xf// 000000004E90: 0A8A8AFA FF015518
	v_mul_f32_dpp v70, v24, v70 row_newbcast:6 row_mask:0xf bank_mask:0xf// 000000004E98: 0A8C8CFA FF015618
	v_mul_f32_dpp v71, v24, v71 row_newbcast:7 row_mask:0xf bank_mask:0xf// 000000004EA0: 0A8E8EFA FF015718
	v_mul_f32_dpp v72, v24, v72 row_newbcast:4 row_mask:0xf bank_mask:0xf// 000000004EA8: 0A9090FA FF015418
	v_mul_f32_dpp v73, v24, v73 row_newbcast:5 row_mask:0xf bank_mask:0xf// 000000004EB0: 0A9292FA FF015518
	v_mul_f32_dpp v74, v24, v74 row_newbcast:6 row_mask:0xf bank_mask:0xf// 000000004EB8: 0A9494FA FF015618
	v_mul_f32_dpp v75, v24, v75 row_newbcast:7 row_mask:0xf bank_mask:0xf// 000000004EC0: 0A9696FA FF015718
	v_mul_f32_dpp v76, v24, v76 row_newbcast:8 row_mask:0xf bank_mask:0xf// 000000004EC8: 0A9898FA FF015818
	v_mul_f32_dpp v77, v24, v77 row_newbcast:9 row_mask:0xf bank_mask:0xf// 000000004ED0: 0A9A9AFA FF015918
	v_mul_f32_dpp v78, v24, v78 row_newbcast:10 row_mask:0xf bank_mask:0xf// 000000004ED8: 0A9C9CFA FF015A18
	v_mul_f32_dpp v79, v24, v79 row_newbcast:11 row_mask:0xf bank_mask:0xf// 000000004EE0: 0A9E9EFA FF015B18
	v_mul_f32_dpp v80, v24, v80 row_newbcast:8 row_mask:0xf bank_mask:0xf// 000000004EE8: 0AA0A0FA FF015818
	v_mul_f32_dpp v81, v24, v81 row_newbcast:9 row_mask:0xf bank_mask:0xf// 000000004EF0: 0AA2A2FA FF015918
	v_mul_f32_dpp v82, v24, v82 row_newbcast:10 row_mask:0xf bank_mask:0xf// 000000004EF8: 0AA4A4FA FF015A18
	v_mul_f32_dpp v83, v24, v83 row_newbcast:11 row_mask:0xf bank_mask:0xf// 000000004F00: 0AA6A6FA FF015B18
	v_mul_f32_dpp v84, v24, v84 row_newbcast:8 row_mask:0xf bank_mask:0xf// 000000004F08: 0AA8A8FA FF015818
	v_mul_f32_dpp v85, v24, v85 row_newbcast:9 row_mask:0xf bank_mask:0xf// 000000004F10: 0AAAAAFA FF015918
	v_mul_f32_dpp v86, v24, v86 row_newbcast:10 row_mask:0xf bank_mask:0xf// 000000004F18: 0AACACFA FF015A18
	v_mul_f32_dpp v87, v24, v87 row_newbcast:11 row_mask:0xf bank_mask:0xf// 000000004F20: 0AAEAEFA FF015B18
	v_mul_f32_dpp v88, v24, v88 row_newbcast:12 row_mask:0xf bank_mask:0xf// 000000004F28: 0AB0B0FA FF015C18
	v_mul_f32_dpp v89, v24, v89 row_newbcast:13 row_mask:0xf bank_mask:0xf// 000000004F30: 0AB2B2FA FF015D18
	v_mul_f32_dpp v90, v24, v90 row_newbcast:14 row_mask:0xf bank_mask:0xf// 000000004F38: 0AB4B4FA FF015E18
	v_mul_f32_dpp v91, v24, v91 row_newbcast:15 row_mask:0xf bank_mask:0xf// 000000004F40: 0AB6B6FA FF015F18
	v_mul_f32_dpp v92, v24, v92 row_newbcast:12 row_mask:0xf bank_mask:0xf// 000000004F48: 0AB8B8FA FF015C18
	v_mul_f32_dpp v93, v24, v93 row_newbcast:13 row_mask:0xf bank_mask:0xf// 000000004F50: 0ABABAFA FF015D18
	v_mul_f32_dpp v94, v24, v94 row_newbcast:14 row_mask:0xf bank_mask:0xf// 000000004F58: 0ABCBCFA FF015E18
	v_mul_f32_dpp v95, v24, v95 row_newbcast:15 row_mask:0xf bank_mask:0xf// 000000004F60: 0ABEBEFA FF015F18
	v_mul_f32_dpp v96, v24, v96 row_newbcast:12 row_mask:0xf bank_mask:0xf// 000000004F68: 0AC0C0FA FF015C18
	v_mul_f32_dpp v97, v24, v97 row_newbcast:13 row_mask:0xf bank_mask:0xf// 000000004F70: 0AC2C2FA FF015D18
	v_mul_f32_dpp v98, v24, v98 row_newbcast:14 row_mask:0xf bank_mask:0xf// 000000004F78: 0AC4C4FA FF015E18
	v_mul_f32_dpp v99, v24, v99 row_newbcast:15 row_mask:0xf bank_mask:0xf// 000000004F80: 0AC6C6FA FF015F18
	v_mul_f32_dpp v100, v27, v100 row_newbcast:0 row_mask:0xf bank_mask:0xf// 000000004F88: 0AC8C8FA FF01501B
	v_mul_f32_dpp v101, v27, v101 row_newbcast:1 row_mask:0xf bank_mask:0xf// 000000004F90: 0ACACAFA FF01511B
	v_mul_f32_dpp v102, v27, v102 row_newbcast:2 row_mask:0xf bank_mask:0xf// 000000004F98: 0ACCCCFA FF01521B
	v_mul_f32_dpp v103, v27, v103 row_newbcast:3 row_mask:0xf bank_mask:0xf// 000000004FA0: 0ACECEFA FF01531B
	v_mul_f32_dpp v104, v27, v104 row_newbcast:0 row_mask:0xf bank_mask:0xf// 000000004FA8: 0AD0D0FA FF01501B
	v_mul_f32_dpp v105, v27, v105 row_newbcast:1 row_mask:0xf bank_mask:0xf// 000000004FB0: 0AD2D2FA FF01511B
	v_mul_f32_dpp v106, v27, v106 row_newbcast:2 row_mask:0xf bank_mask:0xf// 000000004FB8: 0AD4D4FA FF01521B
	v_mul_f32_dpp v107, v27, v107 row_newbcast:3 row_mask:0xf bank_mask:0xf// 000000004FC0: 0AD6D6FA FF01531B
	v_mul_f32_dpp v108, v27, v108 row_newbcast:0 row_mask:0xf bank_mask:0xf// 000000004FC8: 0AD8D8FA FF01501B
	v_mul_f32_dpp v109, v27, v109 row_newbcast:1 row_mask:0xf bank_mask:0xf// 000000004FD0: 0ADADAFA FF01511B
	v_mul_f32_dpp v110, v27, v110 row_newbcast:2 row_mask:0xf bank_mask:0xf// 000000004FD8: 0ADCDCFA FF01521B
	v_mul_f32_dpp v111, v27, v111 row_newbcast:3 row_mask:0xf bank_mask:0xf// 000000004FE0: 0ADEDEFA FF01531B
	v_mul_f32_dpp v112, v27, v112 row_newbcast:4 row_mask:0xf bank_mask:0xf// 000000004FE8: 0AE0E0FA FF01541B
	v_mul_f32_dpp v113, v27, v113 row_newbcast:5 row_mask:0xf bank_mask:0xf// 000000004FF0: 0AE2E2FA FF01551B
	v_mul_f32_dpp v114, v27, v114 row_newbcast:6 row_mask:0xf bank_mask:0xf// 000000004FF8: 0AE4E4FA FF01561B
	v_mul_f32_dpp v115, v27, v115 row_newbcast:7 row_mask:0xf bank_mask:0xf// 000000005000: 0AE6E6FA FF01571B
	v_mul_f32_dpp v116, v27, v116 row_newbcast:4 row_mask:0xf bank_mask:0xf// 000000005008: 0AE8E8FA FF01541B
	v_mul_f32_dpp v117, v27, v117 row_newbcast:5 row_mask:0xf bank_mask:0xf// 000000005010: 0AEAEAFA FF01551B
	v_mul_f32_dpp v118, v27, v118 row_newbcast:6 row_mask:0xf bank_mask:0xf// 000000005018: 0AECECFA FF01561B
	v_mul_f32_dpp v119, v27, v119 row_newbcast:7 row_mask:0xf bank_mask:0xf// 000000005020: 0AEEEEFA FF01571B
	v_mul_f32_dpp v120, v27, v120 row_newbcast:4 row_mask:0xf bank_mask:0xf// 000000005028: 0AF0F0FA FF01541B
	v_mul_f32_dpp v121, v27, v121 row_newbcast:5 row_mask:0xf bank_mask:0xf// 000000005030: 0AF2F2FA FF01551B
	v_mul_f32_dpp v122, v27, v122 row_newbcast:6 row_mask:0xf bank_mask:0xf// 000000005038: 0AF4F4FA FF01561B
	v_mul_f32_dpp v123, v27, v123 row_newbcast:7 row_mask:0xf bank_mask:0xf// 000000005040: 0AF6F6FA FF01571B
	v_mul_f32_dpp v124, v27, v124 row_newbcast:8 row_mask:0xf bank_mask:0xf// 000000005048: 0AF8F8FA FF01581B
	v_mul_f32_dpp v125, v27, v125 row_newbcast:9 row_mask:0xf bank_mask:0xf// 000000005050: 0AFAFAFA FF01591B
	v_mul_f32_dpp v126, v27, v126 row_newbcast:10 row_mask:0xf bank_mask:0xf// 000000005058: 0AFCFCFA FF015A1B
	v_mul_f32_dpp v127, v27, v127 row_newbcast:11 row_mask:0xf bank_mask:0xf// 000000005060: 0AFEFEFA FF015B1B
	v_mul_f32_dpp v128, v27, v128 row_newbcast:8 row_mask:0xf bank_mask:0xf// 000000005068: 0B0100FA FF01581B
	v_mul_f32_dpp v129, v27, v129 row_newbcast:9 row_mask:0xf bank_mask:0xf// 000000005070: 0B0302FA FF01591B
	v_mul_f32_dpp v130, v27, v130 row_newbcast:10 row_mask:0xf bank_mask:0xf// 000000005078: 0B0504FA FF015A1B
	v_mul_f32_dpp v131, v27, v131 row_newbcast:11 row_mask:0xf bank_mask:0xf// 000000005080: 0B0706FA FF015B1B
	v_mul_f32_dpp v132, v27, v132 row_newbcast:8 row_mask:0xf bank_mask:0xf// 000000005088: 0B0908FA FF01581B
	v_mul_f32_dpp v133, v27, v133 row_newbcast:9 row_mask:0xf bank_mask:0xf// 000000005090: 0B0B0AFA FF01591B
	v_mul_f32_dpp v134, v27, v134 row_newbcast:10 row_mask:0xf bank_mask:0xf// 000000005098: 0B0D0CFA FF015A1B
	v_mul_f32_dpp v135, v27, v135 row_newbcast:11 row_mask:0xf bank_mask:0xf// 0000000050A0: 0B0F0EFA FF015B1B
	v_mul_f32_dpp v136, v27, v136 row_newbcast:12 row_mask:0xf bank_mask:0xf// 0000000050A8: 0B1110FA FF015C1B
	v_mul_f32_dpp v137, v27, v137 row_newbcast:13 row_mask:0xf bank_mask:0xf// 0000000050B0: 0B1312FA FF015D1B
	v_mul_f32_dpp v138, v27, v138 row_newbcast:14 row_mask:0xf bank_mask:0xf// 0000000050B8: 0B1514FA FF015E1B
	v_mul_f32_dpp v139, v27, v139 row_newbcast:15 row_mask:0xf bank_mask:0xf// 0000000050C0: 0B1716FA FF015F1B
	v_mul_f32_dpp v140, v27, v140 row_newbcast:12 row_mask:0xf bank_mask:0xf// 0000000050C8: 0B1918FA FF015C1B
	v_mul_f32_dpp v141, v27, v141 row_newbcast:13 row_mask:0xf bank_mask:0xf// 0000000050D0: 0B1B1AFA FF015D1B
	v_mul_f32_dpp v142, v27, v142 row_newbcast:14 row_mask:0xf bank_mask:0xf// 0000000050D8: 0B1D1CFA FF015E1B
	v_mul_f32_dpp v143, v27, v143 row_newbcast:15 row_mask:0xf bank_mask:0xf// 0000000050E0: 0B1F1EFA FF015F1B
	v_mul_f32_dpp v144, v27, v144 row_newbcast:12 row_mask:0xf bank_mask:0xf// 0000000050E8: 0B2120FA FF015C1B
	v_mul_f32_dpp v145, v27, v145 row_newbcast:13 row_mask:0xf bank_mask:0xf// 0000000050F0: 0B2322FA FF015D1B
	v_mul_f32_dpp v146, v27, v146 row_newbcast:14 row_mask:0xf bank_mask:0xf// 0000000050F8: 0B2524FA FF015E1B
	v_mul_f32_dpp v147, v27, v147 row_newbcast:15 row_mask:0xf bank_mask:0xf// 000000005100: 0B2726FA FF015F1B
	v_mov_b32_e32 v4, v33                                      // 000000005108: 7E080321
	v_mov_b32_e32 v5, v4                                       // 00000000510C: 7E0A0304
	v_pk_mul_f32 v[52:53], v[4:5], v[52:53]                    // 000000005110: D3B14034 18026904
	v_pk_mul_f32 v[100:101], v[4:5], v[100:101]                // 000000005118: D3B14064 1802C904
	v_pk_mul_f32 v[54:55], v[4:5], v[54:55]                    // 000000005120: D3B14036 18026D04
	v_pk_mul_f32 v[102:103], v[4:5], v[102:103]                // 000000005128: D3B14066 1802CD04
	v_pk_mul_f32 v[64:65], v[4:5], v[64:65]                    // 000000005130: D3B14040 18028104
	v_pk_mul_f32 v[112:113], v[4:5], v[112:113]                // 000000005138: D3B14070 1802E104
	v_pk_mul_f32 v[66:67], v[4:5], v[66:67]                    // 000000005140: D3B14042 18028504
	v_pk_mul_f32 v[114:115], v[4:5], v[114:115]                // 000000005148: D3B14072 1802E504
	v_pk_mul_f32 v[76:77], v[4:5], v[76:77]                    // 000000005150: D3B1404C 18029904
	v_pk_mul_f32 v[124:125], v[4:5], v[124:125]                // 000000005158: D3B1407C 1802F904
	v_pk_mul_f32 v[78:79], v[4:5], v[78:79]                    // 000000005160: D3B1404E 18029D04
	v_pk_mul_f32 v[126:127], v[4:5], v[126:127]                // 000000005168: D3B1407E 1802FD04
	v_pk_mul_f32 v[88:89], v[4:5], v[88:89]                    // 000000005170: D3B14058 1802B104
	v_pk_mul_f32 v[136:137], v[4:5], v[136:137]                // 000000005178: D3B14088 18031104
	v_pk_mul_f32 v[90:91], v[4:5], v[90:91]                    // 000000005180: D3B1405A 1802B504
	v_pk_mul_f32 v[138:139], v[4:5], v[138:139]                // 000000005188: D3B1408A 18031504
	v_mov_b32_e32 v4, v34                                      // 000000005190: 7E080322
	v_mov_b32_e32 v5, v4                                       // 000000005194: 7E0A0304
	v_pk_mul_f32 v[56:57], v[4:5], v[56:57]                    // 000000005198: D3B14038 18027104
	v_pk_mul_f32 v[104:105], v[4:5], v[104:105]                // 0000000051A0: D3B14068 1802D104
	v_pk_mul_f32 v[58:59], v[4:5], v[58:59]                    // 0000000051A8: D3B1403A 18027504
	v_pk_mul_f32 v[106:107], v[4:5], v[106:107]                // 0000000051B0: D3B1406A 1802D504
	v_pk_mul_f32 v[68:69], v[4:5], v[68:69]                    // 0000000051B8: D3B14044 18028904
	v_pk_mul_f32 v[116:117], v[4:5], v[116:117]                // 0000000051C0: D3B14074 1802E904
	v_pk_mul_f32 v[70:71], v[4:5], v[70:71]                    // 0000000051C8: D3B14046 18028D04
	v_pk_mul_f32 v[118:119], v[4:5], v[118:119]                // 0000000051D0: D3B14076 1802ED04
	v_pk_mul_f32 v[80:81], v[4:5], v[80:81]                    // 0000000051D8: D3B14050 1802A104
	v_pk_mul_f32 v[128:129], v[4:5], v[128:129]                // 0000000051E0: D3B14080 18030104
	v_pk_mul_f32 v[82:83], v[4:5], v[82:83]                    // 0000000051E8: D3B14052 1802A504
	v_pk_mul_f32 v[130:131], v[4:5], v[130:131]                // 0000000051F0: D3B14082 18030504
	v_pk_mul_f32 v[92:93], v[4:5], v[92:93]                    // 0000000051F8: D3B1405C 1802B904
	v_pk_mul_f32 v[140:141], v[4:5], v[140:141]                // 000000005200: D3B1408C 18031904
	v_pk_mul_f32 v[94:95], v[4:5], v[94:95]                    // 000000005208: D3B1405E 1802BD04
	v_pk_mul_f32 v[142:143], v[4:5], v[142:143]                // 000000005210: D3B1408E 18031D04
	v_mov_b32_e32 v4, v35                                      // 000000005218: 7E080323
	v_mov_b32_e32 v5, v4                                       // 00000000521C: 7E0A0304
	v_pk_mul_f32 v[60:61], v[4:5], v[60:61]                    // 000000005220: D3B1403C 18027904
	v_pk_mul_f32 v[108:109], v[4:5], v[108:109]                // 000000005228: D3B1406C 1802D904
	v_pk_mul_f32 v[62:63], v[4:5], v[62:63]                    // 000000005230: D3B1403E 18027D04
	v_pk_mul_f32 v[110:111], v[4:5], v[110:111]                // 000000005238: D3B1406E 1802DD04
	v_pk_mul_f32 v[72:73], v[4:5], v[72:73]                    // 000000005240: D3B14048 18029104
	v_pk_mul_f32 v[120:121], v[4:5], v[120:121]                // 000000005248: D3B14078 1802F104
	v_pk_mul_f32 v[74:75], v[4:5], v[74:75]                    // 000000005250: D3B1404A 18029504
	v_pk_mul_f32 v[122:123], v[4:5], v[122:123]                // 000000005258: D3B1407A 1802F504
	v_pk_mul_f32 v[84:85], v[4:5], v[84:85]                    // 000000005260: D3B14054 1802A904
	v_pk_mul_f32 v[132:133], v[4:5], v[132:133]                // 000000005268: D3B14084 18030904
	v_pk_mul_f32 v[86:87], v[4:5], v[86:87]                    // 000000005270: D3B14056 1802AD04
	v_pk_mul_f32 v[134:135], v[4:5], v[134:135]                // 000000005278: D3B14086 18030D04
	v_pk_mul_f32 v[96:97], v[4:5], v[96:97]                    // 000000005280: D3B14060 1802C104
	v_pk_mul_f32 v[144:145], v[4:5], v[144:145]                // 000000005288: D3B14090 18032104
	v_pk_mul_f32 v[98:99], v[4:5], v[98:99]                    // 000000005290: D3B14062 1802C504
	v_pk_mul_f32 v[146:147], v[4:5], v[146:147]                // 000000005298: D3B14092 18032504
	s_cmp_eq_u32 s88, 0                                        // 0000000052A0: BF068058
	s_cbranch_scc0 label_1057                                  // 0000000052A4: BF84062D
	s_cmp_eq_u32 s89, 0                                        // 0000000052A8: BF068059
	s_cbranch_scc1 label_0C11                                  // 0000000052AC: BF8501E5
	v_mov_b32_e32 v8, v1                                       // 0000000052B0: 7E100301
	v_mov_b32_e32 v9, v1                                       // 0000000052B4: 7E120301
	s_mov_b32 s60, s6                                          // 0000000052B8: BEBC0006
	s_mov_b32 s61, s6                                          // 0000000052BC: BEBD0006
	v_pk_mul_f32 v[4:5], v[52:53], v[52:53]                    // 0000000052C0: D3B14004 18026934
	v_pk_mul_f32 v[6:7], v[54:55], v[54:55]                    // 0000000052C8: D3B14006 18026D36
	v_pk_fma_f32 v[4:5], v[4:5], s[78:79], v[8:9]              // 0000000052D0: D3B04004 1C209D04
	v_pk_fma_f32 v[6:7], v[6:7], s[78:79], v[8:9]              // 0000000052D8: D3B04006 1C209D06
	v_pk_mul_f32 v[4:5], v[4:5], v[52:53]                      // 0000000052E0: D3B14004 18026904
	v_pk_mul_f32 v[6:7], v[6:7], v[54:55]                      // 0000000052E8: D3B14006 18026D06
	v_pk_mul_f32 v[4:5], v[4:5], s[60:61]                      // 0000000052F0: D3B14004 18007904
	v_pk_mul_f32 v[6:7], v[6:7], s[60:61]                      // 0000000052F8: D3B14006 18007906
	v_exp_f32_e32 v4, v4                                       // 000000005300: 7E084104
	v_exp_f32_e32 v5, v5                                       // 000000005304: 7E0A4105
	v_exp_f32_e32 v6, v6                                       // 000000005308: 7E0C4106
	v_exp_f32_e32 v7, v7                                       // 00000000530C: 7E0E4107
	v_add_f32_e64 v4, v4, 1.0                                  // 000000005310: D1010004 0001E504
	v_add_f32_e64 v5, v5, 1.0                                  // 000000005318: D1010005 0001E505
	v_add_f32_e64 v6, v6, 1.0                                  // 000000005320: D1010006 0001E506
	v_add_f32_e64 v7, v7, 1.0                                  // 000000005328: D1010007 0001E507
	v_rcp_f32_e32 v4, v4                                       // 000000005330: 7E084504
	v_rcp_f32_e32 v5, v5                                       // 000000005334: 7E0A4505
	v_rcp_f32_e32 v6, v6                                       // 000000005338: 7E0C4506
	v_rcp_f32_e32 v7, v7                                       // 00000000533C: 7E0E4507
	v_mul_f32_e32 v52, v52, v4                                 // 000000005340: 0A680934
	v_mul_f32_e32 v53, v53, v5                                 // 000000005344: 0A6A0B35
	v_mul_f32_e32 v54, v54, v6                                 // 000000005348: 0A6C0D36
	v_mul_f32_e32 v55, v55, v7                                 // 00000000534C: 0A6E0F37
	v_mul_f32_e32 v52, v52, v100                               // 000000005350: 0A68C934
	v_mul_f32_e32 v53, v53, v101                               // 000000005354: 0A6ACB35
	v_mul_f32_e32 v54, v54, v102                               // 000000005358: 0A6CCD36
	v_mul_f32_e32 v55, v55, v103                               // 00000000535C: 0A6ECF37
	v_pk_mul_f32 v[4:5], v[56:57], v[56:57]                    // 000000005360: D3B14004 18027138
	v_pk_mul_f32 v[6:7], v[58:59], v[58:59]                    // 000000005368: D3B14006 1802753A
	v_pk_fma_f32 v[4:5], v[4:5], s[78:79], v[8:9]              // 000000005370: D3B04004 1C209D04
	v_pk_fma_f32 v[6:7], v[6:7], s[78:79], v[8:9]              // 000000005378: D3B04006 1C209D06
	v_pk_mul_f32 v[4:5], v[4:5], v[56:57]                      // 000000005380: D3B14004 18027104
	v_pk_mul_f32 v[6:7], v[6:7], v[58:59]                      // 000000005388: D3B14006 18027506
	v_pk_mul_f32 v[4:5], v[4:5], s[60:61]                      // 000000005390: D3B14004 18007904
	v_pk_mul_f32 v[6:7], v[6:7], s[60:61]                      // 000000005398: D3B14006 18007906
	v_exp_f32_e32 v4, v4                                       // 0000000053A0: 7E084104
	v_exp_f32_e32 v5, v5                                       // 0000000053A4: 7E0A4105
	v_exp_f32_e32 v6, v6                                       // 0000000053A8: 7E0C4106
	v_exp_f32_e32 v7, v7                                       // 0000000053AC: 7E0E4107
	v_add_f32_e64 v4, v4, 1.0                                  // 0000000053B0: D1010004 0001E504
	v_add_f32_e64 v5, v5, 1.0                                  // 0000000053B8: D1010005 0001E505
	v_add_f32_e64 v6, v6, 1.0                                  // 0000000053C0: D1010006 0001E506
	v_add_f32_e64 v7, v7, 1.0                                  // 0000000053C8: D1010007 0001E507
	v_rcp_f32_e32 v4, v4                                       // 0000000053D0: 7E084504
	v_rcp_f32_e32 v5, v5                                       // 0000000053D4: 7E0A4505
	v_rcp_f32_e32 v6, v6                                       // 0000000053D8: 7E0C4506
	v_rcp_f32_e32 v7, v7                                       // 0000000053DC: 7E0E4507
	v_mul_f32_e32 v56, v56, v4                                 // 0000000053E0: 0A700938
	v_mul_f32_e32 v57, v57, v5                                 // 0000000053E4: 0A720B39
	v_mul_f32_e32 v58, v58, v6                                 // 0000000053E8: 0A740D3A
	v_mul_f32_e32 v59, v59, v7                                 // 0000000053EC: 0A760F3B
	v_mul_f32_e32 v56, v56, v104                               // 0000000053F0: 0A70D138
	v_mul_f32_e32 v57, v57, v105                               // 0000000053F4: 0A72D339
	v_mul_f32_e32 v58, v58, v106                               // 0000000053F8: 0A74D53A
	v_mul_f32_e32 v59, v59, v107                               // 0000000053FC: 0A76D73B
	v_pk_mul_f32 v[4:5], v[60:61], v[60:61]                    // 000000005400: D3B14004 1802793C
	v_pk_mul_f32 v[6:7], v[62:63], v[62:63]                    // 000000005408: D3B14006 18027D3E
	v_pk_fma_f32 v[4:5], v[4:5], s[78:79], v[8:9]              // 000000005410: D3B04004 1C209D04
	v_pk_fma_f32 v[6:7], v[6:7], s[78:79], v[8:9]              // 000000005418: D3B04006 1C209D06
	v_pk_mul_f32 v[4:5], v[4:5], v[60:61]                      // 000000005420: D3B14004 18027904
	v_pk_mul_f32 v[6:7], v[6:7], v[62:63]                      // 000000005428: D3B14006 18027D06
	v_pk_mul_f32 v[4:5], v[4:5], s[60:61]                      // 000000005430: D3B14004 18007904
	v_pk_mul_f32 v[6:7], v[6:7], s[60:61]                      // 000000005438: D3B14006 18007906
	v_exp_f32_e32 v4, v4                                       // 000000005440: 7E084104
	v_exp_f32_e32 v5, v5                                       // 000000005444: 7E0A4105
	v_exp_f32_e32 v6, v6                                       // 000000005448: 7E0C4106
	v_exp_f32_e32 v7, v7                                       // 00000000544C: 7E0E4107
	v_add_f32_e64 v4, v4, 1.0                                  // 000000005450: D1010004 0001E504
	v_add_f32_e64 v5, v5, 1.0                                  // 000000005458: D1010005 0001E505
	v_add_f32_e64 v6, v6, 1.0                                  // 000000005460: D1010006 0001E506
	v_add_f32_e64 v7, v7, 1.0                                  // 000000005468: D1010007 0001E507
	v_rcp_f32_e32 v4, v4                                       // 000000005470: 7E084504
	v_rcp_f32_e32 v5, v5                                       // 000000005474: 7E0A4505
	v_rcp_f32_e32 v6, v6                                       // 000000005478: 7E0C4506
	v_rcp_f32_e32 v7, v7                                       // 00000000547C: 7E0E4507
	v_mul_f32_e32 v60, v60, v4                                 // 000000005480: 0A78093C
	v_mul_f32_e32 v61, v61, v5                                 // 000000005484: 0A7A0B3D
	v_mul_f32_e32 v62, v62, v6                                 // 000000005488: 0A7C0D3E
	v_mul_f32_e32 v63, v63, v7                                 // 00000000548C: 0A7E0F3F
	v_mul_f32_e32 v60, v60, v108                               // 000000005490: 0A78D93C
	v_mul_f32_e32 v61, v61, v109                               // 000000005494: 0A7ADB3D
	v_mul_f32_e32 v62, v62, v110                               // 000000005498: 0A7CDD3E
	v_mul_f32_e32 v63, v63, v111                               // 00000000549C: 0A7EDF3F
	v_pk_mul_f32 v[4:5], v[64:65], v[64:65]                    // 0000000054A0: D3B14004 18028140
	v_pk_mul_f32 v[6:7], v[66:67], v[66:67]                    // 0000000054A8: D3B14006 18028542
	v_pk_fma_f32 v[4:5], v[4:5], s[78:79], v[8:9]              // 0000000054B0: D3B04004 1C209D04
	v_pk_fma_f32 v[6:7], v[6:7], s[78:79], v[8:9]              // 0000000054B8: D3B04006 1C209D06
	v_pk_mul_f32 v[4:5], v[4:5], v[64:65]                      // 0000000054C0: D3B14004 18028104
	v_pk_mul_f32 v[6:7], v[6:7], v[66:67]                      // 0000000054C8: D3B14006 18028506
	v_pk_mul_f32 v[4:5], v[4:5], s[60:61]                      // 0000000054D0: D3B14004 18007904
	v_pk_mul_f32 v[6:7], v[6:7], s[60:61]                      // 0000000054D8: D3B14006 18007906
	v_exp_f32_e32 v4, v4                                       // 0000000054E0: 7E084104
	v_exp_f32_e32 v5, v5                                       // 0000000054E4: 7E0A4105
	v_exp_f32_e32 v6, v6                                       // 0000000054E8: 7E0C4106
	v_exp_f32_e32 v7, v7                                       // 0000000054EC: 7E0E4107
	v_add_f32_e64 v4, v4, 1.0                                  // 0000000054F0: D1010004 0001E504
	v_add_f32_e64 v5, v5, 1.0                                  // 0000000054F8: D1010005 0001E505
	v_add_f32_e64 v6, v6, 1.0                                  // 000000005500: D1010006 0001E506
	v_add_f32_e64 v7, v7, 1.0                                  // 000000005508: D1010007 0001E507
	v_rcp_f32_e32 v4, v4                                       // 000000005510: 7E084504
	v_rcp_f32_e32 v5, v5                                       // 000000005514: 7E0A4505
	v_rcp_f32_e32 v6, v6                                       // 000000005518: 7E0C4506
	v_rcp_f32_e32 v7, v7                                       // 00000000551C: 7E0E4507
	v_mul_f32_e32 v64, v64, v4                                 // 000000005520: 0A800940
	v_mul_f32_e32 v65, v65, v5                                 // 000000005524: 0A820B41
	v_mul_f32_e32 v66, v66, v6                                 // 000000005528: 0A840D42
	v_mul_f32_e32 v67, v67, v7                                 // 00000000552C: 0A860F43
	v_mul_f32_e32 v64, v64, v112                               // 000000005530: 0A80E140
	v_mul_f32_e32 v65, v65, v113                               // 000000005534: 0A82E341
	v_mul_f32_e32 v66, v66, v114                               // 000000005538: 0A84E542
	v_mul_f32_e32 v67, v67, v115                               // 00000000553C: 0A86E743
	v_pk_mul_f32 v[4:5], v[68:69], v[68:69]                    // 000000005540: D3B14004 18028944
	v_pk_mul_f32 v[6:7], v[70:71], v[70:71]                    // 000000005548: D3B14006 18028D46
	v_pk_fma_f32 v[4:5], v[4:5], s[78:79], v[8:9]              // 000000005550: D3B04004 1C209D04
	v_pk_fma_f32 v[6:7], v[6:7], s[78:79], v[8:9]              // 000000005558: D3B04006 1C209D06
	v_pk_mul_f32 v[4:5], v[4:5], v[68:69]                      // 000000005560: D3B14004 18028904
	v_pk_mul_f32 v[6:7], v[6:7], v[70:71]                      // 000000005568: D3B14006 18028D06
	v_pk_mul_f32 v[4:5], v[4:5], s[60:61]                      // 000000005570: D3B14004 18007904
	v_pk_mul_f32 v[6:7], v[6:7], s[60:61]                      // 000000005578: D3B14006 18007906
	v_exp_f32_e32 v4, v4                                       // 000000005580: 7E084104
	v_exp_f32_e32 v5, v5                                       // 000000005584: 7E0A4105
	v_exp_f32_e32 v6, v6                                       // 000000005588: 7E0C4106
	v_exp_f32_e32 v7, v7                                       // 00000000558C: 7E0E4107
	v_add_f32_e64 v4, v4, 1.0                                  // 000000005590: D1010004 0001E504
	v_add_f32_e64 v5, v5, 1.0                                  // 000000005598: D1010005 0001E505
	v_add_f32_e64 v6, v6, 1.0                                  // 0000000055A0: D1010006 0001E506
	v_add_f32_e64 v7, v7, 1.0                                  // 0000000055A8: D1010007 0001E507
	v_rcp_f32_e32 v4, v4                                       // 0000000055B0: 7E084504
	v_rcp_f32_e32 v5, v5                                       // 0000000055B4: 7E0A4505
	v_rcp_f32_e32 v6, v6                                       // 0000000055B8: 7E0C4506
	v_rcp_f32_e32 v7, v7                                       // 0000000055BC: 7E0E4507
	v_mul_f32_e32 v68, v68, v4                                 // 0000000055C0: 0A880944
	v_mul_f32_e32 v69, v69, v5                                 // 0000000055C4: 0A8A0B45
	v_mul_f32_e32 v70, v70, v6                                 // 0000000055C8: 0A8C0D46
	v_mul_f32_e32 v71, v71, v7                                 // 0000000055CC: 0A8E0F47
	v_mul_f32_e32 v68, v68, v116                               // 0000000055D0: 0A88E944
	v_mul_f32_e32 v69, v69, v117                               // 0000000055D4: 0A8AEB45
	v_mul_f32_e32 v70, v70, v118                               // 0000000055D8: 0A8CED46
	v_mul_f32_e32 v71, v71, v119                               // 0000000055DC: 0A8EEF47
	v_pk_mul_f32 v[4:5], v[72:73], v[72:73]                    // 0000000055E0: D3B14004 18029148
	v_pk_mul_f32 v[6:7], v[74:75], v[74:75]                    // 0000000055E8: D3B14006 1802954A
	v_pk_fma_f32 v[4:5], v[4:5], s[78:79], v[8:9]              // 0000000055F0: D3B04004 1C209D04
	v_pk_fma_f32 v[6:7], v[6:7], s[78:79], v[8:9]              // 0000000055F8: D3B04006 1C209D06
	v_pk_mul_f32 v[4:5], v[4:5], v[72:73]                      // 000000005600: D3B14004 18029104
	v_pk_mul_f32 v[6:7], v[6:7], v[74:75]                      // 000000005608: D3B14006 18029506
	v_pk_mul_f32 v[4:5], v[4:5], s[60:61]                      // 000000005610: D3B14004 18007904
	v_pk_mul_f32 v[6:7], v[6:7], s[60:61]                      // 000000005618: D3B14006 18007906
	v_exp_f32_e32 v4, v4                                       // 000000005620: 7E084104
	v_exp_f32_e32 v5, v5                                       // 000000005624: 7E0A4105
	v_exp_f32_e32 v6, v6                                       // 000000005628: 7E0C4106
	v_exp_f32_e32 v7, v7                                       // 00000000562C: 7E0E4107
	v_add_f32_e64 v4, v4, 1.0                                  // 000000005630: D1010004 0001E504
	v_add_f32_e64 v5, v5, 1.0                                  // 000000005638: D1010005 0001E505
	v_add_f32_e64 v6, v6, 1.0                                  // 000000005640: D1010006 0001E506
	v_add_f32_e64 v7, v7, 1.0                                  // 000000005648: D1010007 0001E507
	v_rcp_f32_e32 v4, v4                                       // 000000005650: 7E084504
	v_rcp_f32_e32 v5, v5                                       // 000000005654: 7E0A4505
	v_rcp_f32_e32 v6, v6                                       // 000000005658: 7E0C4506
	v_rcp_f32_e32 v7, v7                                       // 00000000565C: 7E0E4507
	v_mul_f32_e32 v72, v72, v4                                 // 000000005660: 0A900948
	v_mul_f32_e32 v73, v73, v5                                 // 000000005664: 0A920B49
	v_mul_f32_e32 v74, v74, v6                                 // 000000005668: 0A940D4A
	v_mul_f32_e32 v75, v75, v7                                 // 00000000566C: 0A960F4B
	v_mul_f32_e32 v72, v72, v120                               // 000000005670: 0A90F148
	v_mul_f32_e32 v73, v73, v121                               // 000000005674: 0A92F349
	v_mul_f32_e32 v74, v74, v122                               // 000000005678: 0A94F54A
	v_mul_f32_e32 v75, v75, v123                               // 00000000567C: 0A96F74B
	v_pk_mul_f32 v[4:5], v[76:77], v[76:77]                    // 000000005680: D3B14004 1802994C
	v_pk_mul_f32 v[6:7], v[78:79], v[78:79]                    // 000000005688: D3B14006 18029D4E
	v_pk_fma_f32 v[4:5], v[4:5], s[78:79], v[8:9]              // 000000005690: D3B04004 1C209D04
	v_pk_fma_f32 v[6:7], v[6:7], s[78:79], v[8:9]              // 000000005698: D3B04006 1C209D06
	v_pk_mul_f32 v[4:5], v[4:5], v[76:77]                      // 0000000056A0: D3B14004 18029904
	v_pk_mul_f32 v[6:7], v[6:7], v[78:79]                      // 0000000056A8: D3B14006 18029D06
	v_pk_mul_f32 v[4:5], v[4:5], s[60:61]                      // 0000000056B0: D3B14004 18007904
	v_pk_mul_f32 v[6:7], v[6:7], s[60:61]                      // 0000000056B8: D3B14006 18007906
	v_exp_f32_e32 v4, v4                                       // 0000000056C0: 7E084104
	v_exp_f32_e32 v5, v5                                       // 0000000056C4: 7E0A4105
	v_exp_f32_e32 v6, v6                                       // 0000000056C8: 7E0C4106
	v_exp_f32_e32 v7, v7                                       // 0000000056CC: 7E0E4107
	v_add_f32_e64 v4, v4, 1.0                                  // 0000000056D0: D1010004 0001E504
	v_add_f32_e64 v5, v5, 1.0                                  // 0000000056D8: D1010005 0001E505
	v_add_f32_e64 v6, v6, 1.0                                  // 0000000056E0: D1010006 0001E506
	v_add_f32_e64 v7, v7, 1.0                                  // 0000000056E8: D1010007 0001E507
	v_rcp_f32_e32 v4, v4                                       // 0000000056F0: 7E084504
	v_rcp_f32_e32 v5, v5                                       // 0000000056F4: 7E0A4505
	v_rcp_f32_e32 v6, v6                                       // 0000000056F8: 7E0C4506
	v_rcp_f32_e32 v7, v7                                       // 0000000056FC: 7E0E4507
	v_mul_f32_e32 v76, v76, v4                                 // 000000005700: 0A98094C
	v_mul_f32_e32 v77, v77, v5                                 // 000000005704: 0A9A0B4D
	v_mul_f32_e32 v78, v78, v6                                 // 000000005708: 0A9C0D4E
	v_mul_f32_e32 v79, v79, v7                                 // 00000000570C: 0A9E0F4F
	v_mul_f32_e32 v76, v76, v124                               // 000000005710: 0A98F94C
	v_mul_f32_e32 v77, v77, v125                               // 000000005714: 0A9AFB4D
	v_mul_f32_e32 v78, v78, v126                               // 000000005718: 0A9CFD4E
	v_mul_f32_e32 v79, v79, v127                               // 00000000571C: 0A9EFF4F
	v_pk_mul_f32 v[4:5], v[80:81], v[80:81]                    // 000000005720: D3B14004 1802A150
	v_pk_mul_f32 v[6:7], v[82:83], v[82:83]                    // 000000005728: D3B14006 1802A552
	v_pk_fma_f32 v[4:5], v[4:5], s[78:79], v[8:9]              // 000000005730: D3B04004 1C209D04
	v_pk_fma_f32 v[6:7], v[6:7], s[78:79], v[8:9]              // 000000005738: D3B04006 1C209D06
	v_pk_mul_f32 v[4:5], v[4:5], v[80:81]                      // 000000005740: D3B14004 1802A104
	v_pk_mul_f32 v[6:7], v[6:7], v[82:83]                      // 000000005748: D3B14006 1802A506
	v_pk_mul_f32 v[4:5], v[4:5], s[60:61]                      // 000000005750: D3B14004 18007904
	v_pk_mul_f32 v[6:7], v[6:7], s[60:61]                      // 000000005758: D3B14006 18007906
	v_exp_f32_e32 v4, v4                                       // 000000005760: 7E084104
	v_exp_f32_e32 v5, v5                                       // 000000005764: 7E0A4105
	v_exp_f32_e32 v6, v6                                       // 000000005768: 7E0C4106
	v_exp_f32_e32 v7, v7                                       // 00000000576C: 7E0E4107
	v_add_f32_e64 v4, v4, 1.0                                  // 000000005770: D1010004 0001E504
	v_add_f32_e64 v5, v5, 1.0                                  // 000000005778: D1010005 0001E505
	v_add_f32_e64 v6, v6, 1.0                                  // 000000005780: D1010006 0001E506
	v_add_f32_e64 v7, v7, 1.0                                  // 000000005788: D1010007 0001E507
	v_rcp_f32_e32 v4, v4                                       // 000000005790: 7E084504
	v_rcp_f32_e32 v5, v5                                       // 000000005794: 7E0A4505
	v_rcp_f32_e32 v6, v6                                       // 000000005798: 7E0C4506
	v_rcp_f32_e32 v7, v7                                       // 00000000579C: 7E0E4507
	v_mul_f32_e32 v80, v80, v4                                 // 0000000057A0: 0AA00950
	v_mul_f32_e32 v81, v81, v5                                 // 0000000057A4: 0AA20B51
	v_mul_f32_e32 v82, v82, v6                                 // 0000000057A8: 0AA40D52
	v_mul_f32_e32 v83, v83, v7                                 // 0000000057AC: 0AA60F53
	v_mul_f32_e32 v80, v80, v128                               // 0000000057B0: 0AA10150
	v_mul_f32_e32 v81, v81, v129                               // 0000000057B4: 0AA30351
	v_mul_f32_e32 v82, v82, v130                               // 0000000057B8: 0AA50552
	v_mul_f32_e32 v83, v83, v131                               // 0000000057BC: 0AA70753
	v_pk_mul_f32 v[4:5], v[84:85], v[84:85]                    // 0000000057C0: D3B14004 1802A954
	v_pk_mul_f32 v[6:7], v[86:87], v[86:87]                    // 0000000057C8: D3B14006 1802AD56
	v_pk_fma_f32 v[4:5], v[4:5], s[78:79], v[8:9]              // 0000000057D0: D3B04004 1C209D04
	v_pk_fma_f32 v[6:7], v[6:7], s[78:79], v[8:9]              // 0000000057D8: D3B04006 1C209D06
	v_pk_mul_f32 v[4:5], v[4:5], v[84:85]                      // 0000000057E0: D3B14004 1802A904
	v_pk_mul_f32 v[6:7], v[6:7], v[86:87]                      // 0000000057E8: D3B14006 1802AD06
	v_pk_mul_f32 v[4:5], v[4:5], s[60:61]                      // 0000000057F0: D3B14004 18007904
	v_pk_mul_f32 v[6:7], v[6:7], s[60:61]                      // 0000000057F8: D3B14006 18007906
	v_exp_f32_e32 v4, v4                                       // 000000005800: 7E084104
	v_exp_f32_e32 v5, v5                                       // 000000005804: 7E0A4105
	v_exp_f32_e32 v6, v6                                       // 000000005808: 7E0C4106
	v_exp_f32_e32 v7, v7                                       // 00000000580C: 7E0E4107
	v_add_f32_e64 v4, v4, 1.0                                  // 000000005810: D1010004 0001E504
	v_add_f32_e64 v5, v5, 1.0                                  // 000000005818: D1010005 0001E505
	v_add_f32_e64 v6, v6, 1.0                                  // 000000005820: D1010006 0001E506
	v_add_f32_e64 v7, v7, 1.0                                  // 000000005828: D1010007 0001E507
	v_rcp_f32_e32 v4, v4                                       // 000000005830: 7E084504
	v_rcp_f32_e32 v5, v5                                       // 000000005834: 7E0A4505
	v_rcp_f32_e32 v6, v6                                       // 000000005838: 7E0C4506
	v_rcp_f32_e32 v7, v7                                       // 00000000583C: 7E0E4507
	v_mul_f32_e32 v84, v84, v4                                 // 000000005840: 0AA80954
	v_mul_f32_e32 v85, v85, v5                                 // 000000005844: 0AAA0B55
	v_mul_f32_e32 v86, v86, v6                                 // 000000005848: 0AAC0D56
	v_mul_f32_e32 v87, v87, v7                                 // 00000000584C: 0AAE0F57
	v_mul_f32_e32 v84, v84, v132                               // 000000005850: 0AA90954
	v_mul_f32_e32 v85, v85, v133                               // 000000005854: 0AAB0B55
	v_mul_f32_e32 v86, v86, v134                               // 000000005858: 0AAD0D56
	v_mul_f32_e32 v87, v87, v135                               // 00000000585C: 0AAF0F57
	v_pk_mul_f32 v[4:5], v[88:89], v[88:89]                    // 000000005860: D3B14004 1802B158
	v_pk_mul_f32 v[6:7], v[90:91], v[90:91]                    // 000000005868: D3B14006 1802B55A
	v_pk_fma_f32 v[4:5], v[4:5], s[78:79], v[8:9]              // 000000005870: D3B04004 1C209D04
	v_pk_fma_f32 v[6:7], v[6:7], s[78:79], v[8:9]              // 000000005878: D3B04006 1C209D06
	v_pk_mul_f32 v[4:5], v[4:5], v[88:89]                      // 000000005880: D3B14004 1802B104
	v_pk_mul_f32 v[6:7], v[6:7], v[90:91]                      // 000000005888: D3B14006 1802B506
	v_pk_mul_f32 v[4:5], v[4:5], s[60:61]                      // 000000005890: D3B14004 18007904
	v_pk_mul_f32 v[6:7], v[6:7], s[60:61]                      // 000000005898: D3B14006 18007906
	v_exp_f32_e32 v4, v4                                       // 0000000058A0: 7E084104
	v_exp_f32_e32 v5, v5                                       // 0000000058A4: 7E0A4105
	v_exp_f32_e32 v6, v6                                       // 0000000058A8: 7E0C4106
	v_exp_f32_e32 v7, v7                                       // 0000000058AC: 7E0E4107
	v_add_f32_e64 v4, v4, 1.0                                  // 0000000058B0: D1010004 0001E504
	v_add_f32_e64 v5, v5, 1.0                                  // 0000000058B8: D1010005 0001E505
	v_add_f32_e64 v6, v6, 1.0                                  // 0000000058C0: D1010006 0001E506
	v_add_f32_e64 v7, v7, 1.0                                  // 0000000058C8: D1010007 0001E507
	v_rcp_f32_e32 v4, v4                                       // 0000000058D0: 7E084504
	v_rcp_f32_e32 v5, v5                                       // 0000000058D4: 7E0A4505
	v_rcp_f32_e32 v6, v6                                       // 0000000058D8: 7E0C4506
	v_rcp_f32_e32 v7, v7                                       // 0000000058DC: 7E0E4507
	v_mul_f32_e32 v88, v88, v4                                 // 0000000058E0: 0AB00958
	v_mul_f32_e32 v89, v89, v5                                 // 0000000058E4: 0AB20B59
	v_mul_f32_e32 v90, v90, v6                                 // 0000000058E8: 0AB40D5A
	v_mul_f32_e32 v91, v91, v7                                 // 0000000058EC: 0AB60F5B
	v_mul_f32_e32 v88, v88, v136                               // 0000000058F0: 0AB11158
	v_mul_f32_e32 v89, v89, v137                               // 0000000058F4: 0AB31359
	v_mul_f32_e32 v90, v90, v138                               // 0000000058F8: 0AB5155A
	v_mul_f32_e32 v91, v91, v139                               // 0000000058FC: 0AB7175B
	v_pk_mul_f32 v[4:5], v[92:93], v[92:93]                    // 000000005900: D3B14004 1802B95C
	v_pk_mul_f32 v[6:7], v[94:95], v[94:95]                    // 000000005908: D3B14006 1802BD5E
	v_pk_fma_f32 v[4:5], v[4:5], s[78:79], v[8:9]              // 000000005910: D3B04004 1C209D04
	v_pk_fma_f32 v[6:7], v[6:7], s[78:79], v[8:9]              // 000000005918: D3B04006 1C209D06
	v_pk_mul_f32 v[4:5], v[4:5], v[92:93]                      // 000000005920: D3B14004 1802B904
	v_pk_mul_f32 v[6:7], v[6:7], v[94:95]                      // 000000005928: D3B14006 1802BD06
	v_pk_mul_f32 v[4:5], v[4:5], s[60:61]                      // 000000005930: D3B14004 18007904
	v_pk_mul_f32 v[6:7], v[6:7], s[60:61]                      // 000000005938: D3B14006 18007906
	v_exp_f32_e32 v4, v4                                       // 000000005940: 7E084104
	v_exp_f32_e32 v5, v5                                       // 000000005944: 7E0A4105
	v_exp_f32_e32 v6, v6                                       // 000000005948: 7E0C4106
	v_exp_f32_e32 v7, v7                                       // 00000000594C: 7E0E4107
	v_add_f32_e64 v4, v4, 1.0                                  // 000000005950: D1010004 0001E504
	v_add_f32_e64 v5, v5, 1.0                                  // 000000005958: D1010005 0001E505
	v_add_f32_e64 v6, v6, 1.0                                  // 000000005960: D1010006 0001E506
	v_add_f32_e64 v7, v7, 1.0                                  // 000000005968: D1010007 0001E507
	v_rcp_f32_e32 v4, v4                                       // 000000005970: 7E084504
	v_rcp_f32_e32 v5, v5                                       // 000000005974: 7E0A4505
	v_rcp_f32_e32 v6, v6                                       // 000000005978: 7E0C4506
	v_rcp_f32_e32 v7, v7                                       // 00000000597C: 7E0E4507
	v_mul_f32_e32 v92, v92, v4                                 // 000000005980: 0AB8095C
	v_mul_f32_e32 v93, v93, v5                                 // 000000005984: 0ABA0B5D
	v_mul_f32_e32 v94, v94, v6                                 // 000000005988: 0ABC0D5E
	v_mul_f32_e32 v95, v95, v7                                 // 00000000598C: 0ABE0F5F
	v_mul_f32_e32 v92, v92, v140                               // 000000005990: 0AB9195C
	v_mul_f32_e32 v93, v93, v141                               // 000000005994: 0ABB1B5D
	v_mul_f32_e32 v94, v94, v142                               // 000000005998: 0ABD1D5E
	v_mul_f32_e32 v95, v95, v143                               // 00000000599C: 0ABF1F5F
	v_pk_mul_f32 v[4:5], v[96:97], v[96:97]                    // 0000000059A0: D3B14004 1802C160
	v_pk_mul_f32 v[6:7], v[98:99], v[98:99]                    // 0000000059A8: D3B14006 1802C562
	v_pk_fma_f32 v[4:5], v[4:5], s[78:79], v[8:9]              // 0000000059B0: D3B04004 1C209D04
	v_pk_fma_f32 v[6:7], v[6:7], s[78:79], v[8:9]              // 0000000059B8: D3B04006 1C209D06
	v_pk_mul_f32 v[4:5], v[4:5], v[96:97]                      // 0000000059C0: D3B14004 1802C104
	v_pk_mul_f32 v[6:7], v[6:7], v[98:99]                      // 0000000059C8: D3B14006 1802C506
	v_pk_mul_f32 v[4:5], v[4:5], s[60:61]                      // 0000000059D0: D3B14004 18007904
	v_pk_mul_f32 v[6:7], v[6:7], s[60:61]                      // 0000000059D8: D3B14006 18007906
	v_exp_f32_e32 v4, v4                                       // 0000000059E0: 7E084104
	v_exp_f32_e32 v5, v5                                       // 0000000059E4: 7E0A4105
	v_exp_f32_e32 v6, v6                                       // 0000000059E8: 7E0C4106
	v_exp_f32_e32 v7, v7                                       // 0000000059EC: 7E0E4107
	v_add_f32_e64 v4, v4, 1.0                                  // 0000000059F0: D1010004 0001E504
	v_add_f32_e64 v5, v5, 1.0                                  // 0000000059F8: D1010005 0001E505
	v_add_f32_e64 v6, v6, 1.0                                  // 000000005A00: D1010006 0001E506
	v_add_f32_e64 v7, v7, 1.0                                  // 000000005A08: D1010007 0001E507
	v_rcp_f32_e32 v4, v4                                       // 000000005A10: 7E084504
	v_rcp_f32_e32 v5, v5                                       // 000000005A14: 7E0A4505
	v_rcp_f32_e32 v6, v6                                       // 000000005A18: 7E0C4506
	v_rcp_f32_e32 v7, v7                                       // 000000005A1C: 7E0E4507
	v_mul_f32_e32 v96, v96, v4                                 // 000000005A20: 0AC00960
	v_mul_f32_e32 v97, v97, v5                                 // 000000005A24: 0AC20B61
	v_mul_f32_e32 v98, v98, v6                                 // 000000005A28: 0AC40D62
	v_mul_f32_e32 v99, v99, v7                                 // 000000005A2C: 0AC60F63
	v_mul_f32_e32 v96, v96, v144                               // 000000005A30: 0AC12160
	v_mul_f32_e32 v97, v97, v145                               // 000000005A34: 0AC32361
	v_mul_f32_e32 v98, v98, v146                               // 000000005A38: 0AC52562
	v_mul_f32_e32 v99, v99, v147                               // 000000005A3C: 0AC72763
	s_branch label_0D91                                        // 000000005A40: BF820180

0000000000005a44 <label_0C11>:
	v_mul_f32_e64 v4, -v52, s6                                 // 000000005A44: D1050004 20000D34
	v_mul_f32_e64 v5, -v53, s6                                 // 000000005A4C: D1050005 20000D35
	v_mul_f32_e64 v6, -v54, s6                                 // 000000005A54: D1050006 20000D36
	v_mul_f32_e64 v7, -v55, s6                                 // 000000005A5C: D1050007 20000D37
	v_exp_f32_e32 v4, v4                                       // 000000005A64: 7E084104
	v_exp_f32_e32 v5, v5                                       // 000000005A68: 7E0A4105
	v_exp_f32_e32 v6, v6                                       // 000000005A6C: 7E0C4106
	v_exp_f32_e32 v7, v7                                       // 000000005A70: 7E0E4107
	v_add_f32_e64 v4, v4, 1.0                                  // 000000005A74: D1010004 0001E504
	v_add_f32_e64 v5, v5, 1.0                                  // 000000005A7C: D1010005 0001E505
	v_add_f32_e64 v6, v6, 1.0                                  // 000000005A84: D1010006 0001E506
	v_add_f32_e64 v7, v7, 1.0                                  // 000000005A8C: D1010007 0001E507
	v_rcp_f32_e32 v4, v4                                       // 000000005A94: 7E084504
	v_rcp_f32_e32 v5, v5                                       // 000000005A98: 7E0A4505
	v_rcp_f32_e32 v6, v6                                       // 000000005A9C: 7E0C4506
	v_rcp_f32_e32 v7, v7                                       // 000000005AA0: 7E0E4507
	v_mul_f32_e32 v52, v52, v4                                 // 000000005AA4: 0A680934
	v_mul_f32_e32 v53, v53, v5                                 // 000000005AA8: 0A6A0B35
	v_mul_f32_e32 v54, v54, v6                                 // 000000005AAC: 0A6C0D36
	v_mul_f32_e32 v55, v55, v7                                 // 000000005AB0: 0A6E0F37
	v_mul_f32_e32 v52, v52, v100                               // 000000005AB4: 0A68C934
	v_mul_f32_e32 v53, v53, v101                               // 000000005AB8: 0A6ACB35
	v_mul_f32_e32 v54, v54, v102                               // 000000005ABC: 0A6CCD36
	v_mul_f32_e32 v55, v55, v103                               // 000000005AC0: 0A6ECF37
	v_mul_f32_e64 v4, -v56, s6                                 // 000000005AC4: D1050004 20000D38
	v_mul_f32_e64 v5, -v57, s6                                 // 000000005ACC: D1050005 20000D39
	v_mul_f32_e64 v6, -v58, s6                                 // 000000005AD4: D1050006 20000D3A
	v_mul_f32_e64 v7, -v59, s6                                 // 000000005ADC: D1050007 20000D3B
	v_exp_f32_e32 v4, v4                                       // 000000005AE4: 7E084104
	v_exp_f32_e32 v5, v5                                       // 000000005AE8: 7E0A4105
	v_exp_f32_e32 v6, v6                                       // 000000005AEC: 7E0C4106
	v_exp_f32_e32 v7, v7                                       // 000000005AF0: 7E0E4107
	v_add_f32_e64 v4, v4, 1.0                                  // 000000005AF4: D1010004 0001E504
	v_add_f32_e64 v5, v5, 1.0                                  // 000000005AFC: D1010005 0001E505
	v_add_f32_e64 v6, v6, 1.0                                  // 000000005B04: D1010006 0001E506
	v_add_f32_e64 v7, v7, 1.0                                  // 000000005B0C: D1010007 0001E507
	v_rcp_f32_e32 v4, v4                                       // 000000005B14: 7E084504
	v_rcp_f32_e32 v5, v5                                       // 000000005B18: 7E0A4505
	v_rcp_f32_e32 v6, v6                                       // 000000005B1C: 7E0C4506
	v_rcp_f32_e32 v7, v7                                       // 000000005B20: 7E0E4507
	v_mul_f32_e32 v56, v56, v4                                 // 000000005B24: 0A700938
	v_mul_f32_e32 v57, v57, v5                                 // 000000005B28: 0A720B39
	v_mul_f32_e32 v58, v58, v6                                 // 000000005B2C: 0A740D3A
	v_mul_f32_e32 v59, v59, v7                                 // 000000005B30: 0A760F3B
	v_mul_f32_e32 v56, v56, v104                               // 000000005B34: 0A70D138
	v_mul_f32_e32 v57, v57, v105                               // 000000005B38: 0A72D339
	v_mul_f32_e32 v58, v58, v106                               // 000000005B3C: 0A74D53A
	v_mul_f32_e32 v59, v59, v107                               // 000000005B40: 0A76D73B
	v_mul_f32_e64 v4, -v60, s6                                 // 000000005B44: D1050004 20000D3C
	v_mul_f32_e64 v5, -v61, s6                                 // 000000005B4C: D1050005 20000D3D
	v_mul_f32_e64 v6, -v62, s6                                 // 000000005B54: D1050006 20000D3E
	v_mul_f32_e64 v7, -v63, s6                                 // 000000005B5C: D1050007 20000D3F
	v_exp_f32_e32 v4, v4                                       // 000000005B64: 7E084104
	v_exp_f32_e32 v5, v5                                       // 000000005B68: 7E0A4105
	v_exp_f32_e32 v6, v6                                       // 000000005B6C: 7E0C4106
	v_exp_f32_e32 v7, v7                                       // 000000005B70: 7E0E4107
	v_add_f32_e64 v4, v4, 1.0                                  // 000000005B74: D1010004 0001E504
	v_add_f32_e64 v5, v5, 1.0                                  // 000000005B7C: D1010005 0001E505
	v_add_f32_e64 v6, v6, 1.0                                  // 000000005B84: D1010006 0001E506
	v_add_f32_e64 v7, v7, 1.0                                  // 000000005B8C: D1010007 0001E507
	v_rcp_f32_e32 v4, v4                                       // 000000005B94: 7E084504
	v_rcp_f32_e32 v5, v5                                       // 000000005B98: 7E0A4505
	v_rcp_f32_e32 v6, v6                                       // 000000005B9C: 7E0C4506
	v_rcp_f32_e32 v7, v7                                       // 000000005BA0: 7E0E4507
	v_mul_f32_e32 v60, v60, v4                                 // 000000005BA4: 0A78093C
	v_mul_f32_e32 v61, v61, v5                                 // 000000005BA8: 0A7A0B3D
	v_mul_f32_e32 v62, v62, v6                                 // 000000005BAC: 0A7C0D3E
	v_mul_f32_e32 v63, v63, v7                                 // 000000005BB0: 0A7E0F3F
	v_mul_f32_e32 v60, v60, v108                               // 000000005BB4: 0A78D93C
	v_mul_f32_e32 v61, v61, v109                               // 000000005BB8: 0A7ADB3D
	v_mul_f32_e32 v62, v62, v110                               // 000000005BBC: 0A7CDD3E
	v_mul_f32_e32 v63, v63, v111                               // 000000005BC0: 0A7EDF3F
	v_mul_f32_e64 v4, -v64, s6                                 // 000000005BC4: D1050004 20000D40
	v_mul_f32_e64 v5, -v65, s6                                 // 000000005BCC: D1050005 20000D41
	v_mul_f32_e64 v6, -v66, s6                                 // 000000005BD4: D1050006 20000D42
	v_mul_f32_e64 v7, -v67, s6                                 // 000000005BDC: D1050007 20000D43
	v_exp_f32_e32 v4, v4                                       // 000000005BE4: 7E084104
	v_exp_f32_e32 v5, v5                                       // 000000005BE8: 7E0A4105
	v_exp_f32_e32 v6, v6                                       // 000000005BEC: 7E0C4106
	v_exp_f32_e32 v7, v7                                       // 000000005BF0: 7E0E4107
	v_add_f32_e64 v4, v4, 1.0                                  // 000000005BF4: D1010004 0001E504
	v_add_f32_e64 v5, v5, 1.0                                  // 000000005BFC: D1010005 0001E505
	v_add_f32_e64 v6, v6, 1.0                                  // 000000005C04: D1010006 0001E506
	v_add_f32_e64 v7, v7, 1.0                                  // 000000005C0C: D1010007 0001E507
	v_rcp_f32_e32 v4, v4                                       // 000000005C14: 7E084504
	v_rcp_f32_e32 v5, v5                                       // 000000005C18: 7E0A4505
	v_rcp_f32_e32 v6, v6                                       // 000000005C1C: 7E0C4506
	v_rcp_f32_e32 v7, v7                                       // 000000005C20: 7E0E4507
	v_mul_f32_e32 v64, v64, v4                                 // 000000005C24: 0A800940
	v_mul_f32_e32 v65, v65, v5                                 // 000000005C28: 0A820B41
	v_mul_f32_e32 v66, v66, v6                                 // 000000005C2C: 0A840D42
	v_mul_f32_e32 v67, v67, v7                                 // 000000005C30: 0A860F43
	v_mul_f32_e32 v64, v64, v112                               // 000000005C34: 0A80E140
	v_mul_f32_e32 v65, v65, v113                               // 000000005C38: 0A82E341
	v_mul_f32_e32 v66, v66, v114                               // 000000005C3C: 0A84E542
	v_mul_f32_e32 v67, v67, v115                               // 000000005C40: 0A86E743
	v_mul_f32_e64 v4, -v68, s6                                 // 000000005C44: D1050004 20000D44
	v_mul_f32_e64 v5, -v69, s6                                 // 000000005C4C: D1050005 20000D45
	v_mul_f32_e64 v6, -v70, s6                                 // 000000005C54: D1050006 20000D46
	v_mul_f32_e64 v7, -v71, s6                                 // 000000005C5C: D1050007 20000D47
	v_exp_f32_e32 v4, v4                                       // 000000005C64: 7E084104
	v_exp_f32_e32 v5, v5                                       // 000000005C68: 7E0A4105
	v_exp_f32_e32 v6, v6                                       // 000000005C6C: 7E0C4106
	v_exp_f32_e32 v7, v7                                       // 000000005C70: 7E0E4107
	v_add_f32_e64 v4, v4, 1.0                                  // 000000005C74: D1010004 0001E504
	v_add_f32_e64 v5, v5, 1.0                                  // 000000005C7C: D1010005 0001E505
	v_add_f32_e64 v6, v6, 1.0                                  // 000000005C84: D1010006 0001E506
	v_add_f32_e64 v7, v7, 1.0                                  // 000000005C8C: D1010007 0001E507
	v_rcp_f32_e32 v4, v4                                       // 000000005C94: 7E084504
	v_rcp_f32_e32 v5, v5                                       // 000000005C98: 7E0A4505
	v_rcp_f32_e32 v6, v6                                       // 000000005C9C: 7E0C4506
	v_rcp_f32_e32 v7, v7                                       // 000000005CA0: 7E0E4507
	v_mul_f32_e32 v68, v68, v4                                 // 000000005CA4: 0A880944
	v_mul_f32_e32 v69, v69, v5                                 // 000000005CA8: 0A8A0B45
	v_mul_f32_e32 v70, v70, v6                                 // 000000005CAC: 0A8C0D46
	v_mul_f32_e32 v71, v71, v7                                 // 000000005CB0: 0A8E0F47
	v_mul_f32_e32 v68, v68, v116                               // 000000005CB4: 0A88E944
	v_mul_f32_e32 v69, v69, v117                               // 000000005CB8: 0A8AEB45
	v_mul_f32_e32 v70, v70, v118                               // 000000005CBC: 0A8CED46
	v_mul_f32_e32 v71, v71, v119                               // 000000005CC0: 0A8EEF47
	v_mul_f32_e64 v4, -v72, s6                                 // 000000005CC4: D1050004 20000D48
	v_mul_f32_e64 v5, -v73, s6                                 // 000000005CCC: D1050005 20000D49
	v_mul_f32_e64 v6, -v74, s6                                 // 000000005CD4: D1050006 20000D4A
	v_mul_f32_e64 v7, -v75, s6                                 // 000000005CDC: D1050007 20000D4B
	v_exp_f32_e32 v4, v4                                       // 000000005CE4: 7E084104
	v_exp_f32_e32 v5, v5                                       // 000000005CE8: 7E0A4105
	v_exp_f32_e32 v6, v6                                       // 000000005CEC: 7E0C4106
	v_exp_f32_e32 v7, v7                                       // 000000005CF0: 7E0E4107
	v_add_f32_e64 v4, v4, 1.0                                  // 000000005CF4: D1010004 0001E504
	v_add_f32_e64 v5, v5, 1.0                                  // 000000005CFC: D1010005 0001E505
	v_add_f32_e64 v6, v6, 1.0                                  // 000000005D04: D1010006 0001E506
	v_add_f32_e64 v7, v7, 1.0                                  // 000000005D0C: D1010007 0001E507
	v_rcp_f32_e32 v4, v4                                       // 000000005D14: 7E084504
	v_rcp_f32_e32 v5, v5                                       // 000000005D18: 7E0A4505
	v_rcp_f32_e32 v6, v6                                       // 000000005D1C: 7E0C4506
	v_rcp_f32_e32 v7, v7                                       // 000000005D20: 7E0E4507
	v_mul_f32_e32 v72, v72, v4                                 // 000000005D24: 0A900948
	v_mul_f32_e32 v73, v73, v5                                 // 000000005D28: 0A920B49
	v_mul_f32_e32 v74, v74, v6                                 // 000000005D2C: 0A940D4A
	v_mul_f32_e32 v75, v75, v7                                 // 000000005D30: 0A960F4B
	v_mul_f32_e32 v72, v72, v120                               // 000000005D34: 0A90F148
	v_mul_f32_e32 v73, v73, v121                               // 000000005D38: 0A92F349
	v_mul_f32_e32 v74, v74, v122                               // 000000005D3C: 0A94F54A
	v_mul_f32_e32 v75, v75, v123                               // 000000005D40: 0A96F74B
	v_mul_f32_e64 v4, -v76, s6                                 // 000000005D44: D1050004 20000D4C
	v_mul_f32_e64 v5, -v77, s6                                 // 000000005D4C: D1050005 20000D4D
	v_mul_f32_e64 v6, -v78, s6                                 // 000000005D54: D1050006 20000D4E
	v_mul_f32_e64 v7, -v79, s6                                 // 000000005D5C: D1050007 20000D4F
	v_exp_f32_e32 v4, v4                                       // 000000005D64: 7E084104
	v_exp_f32_e32 v5, v5                                       // 000000005D68: 7E0A4105
	v_exp_f32_e32 v6, v6                                       // 000000005D6C: 7E0C4106
	v_exp_f32_e32 v7, v7                                       // 000000005D70: 7E0E4107
	v_add_f32_e64 v4, v4, 1.0                                  // 000000005D74: D1010004 0001E504
	v_add_f32_e64 v5, v5, 1.0                                  // 000000005D7C: D1010005 0001E505
	v_add_f32_e64 v6, v6, 1.0                                  // 000000005D84: D1010006 0001E506
	v_add_f32_e64 v7, v7, 1.0                                  // 000000005D8C: D1010007 0001E507
	v_rcp_f32_e32 v4, v4                                       // 000000005D94: 7E084504
	v_rcp_f32_e32 v5, v5                                       // 000000005D98: 7E0A4505
	v_rcp_f32_e32 v6, v6                                       // 000000005D9C: 7E0C4506
	v_rcp_f32_e32 v7, v7                                       // 000000005DA0: 7E0E4507
	v_mul_f32_e32 v76, v76, v4                                 // 000000005DA4: 0A98094C
	v_mul_f32_e32 v77, v77, v5                                 // 000000005DA8: 0A9A0B4D
	v_mul_f32_e32 v78, v78, v6                                 // 000000005DAC: 0A9C0D4E
	v_mul_f32_e32 v79, v79, v7                                 // 000000005DB0: 0A9E0F4F
	v_mul_f32_e32 v76, v76, v124                               // 000000005DB4: 0A98F94C
	v_mul_f32_e32 v77, v77, v125                               // 000000005DB8: 0A9AFB4D
	v_mul_f32_e32 v78, v78, v126                               // 000000005DBC: 0A9CFD4E
	v_mul_f32_e32 v79, v79, v127                               // 000000005DC0: 0A9EFF4F
	v_mul_f32_e64 v4, -v80, s6                                 // 000000005DC4: D1050004 20000D50
	v_mul_f32_e64 v5, -v81, s6                                 // 000000005DCC: D1050005 20000D51
	v_mul_f32_e64 v6, -v82, s6                                 // 000000005DD4: D1050006 20000D52
	v_mul_f32_e64 v7, -v83, s6                                 // 000000005DDC: D1050007 20000D53
	v_exp_f32_e32 v4, v4                                       // 000000005DE4: 7E084104
	v_exp_f32_e32 v5, v5                                       // 000000005DE8: 7E0A4105
	v_exp_f32_e32 v6, v6                                       // 000000005DEC: 7E0C4106
	v_exp_f32_e32 v7, v7                                       // 000000005DF0: 7E0E4107
	v_add_f32_e64 v4, v4, 1.0                                  // 000000005DF4: D1010004 0001E504
	v_add_f32_e64 v5, v5, 1.0                                  // 000000005DFC: D1010005 0001E505
	v_add_f32_e64 v6, v6, 1.0                                  // 000000005E04: D1010006 0001E506
	v_add_f32_e64 v7, v7, 1.0                                  // 000000005E0C: D1010007 0001E507
	v_rcp_f32_e32 v4, v4                                       // 000000005E14: 7E084504
	v_rcp_f32_e32 v5, v5                                       // 000000005E18: 7E0A4505
	v_rcp_f32_e32 v6, v6                                       // 000000005E1C: 7E0C4506
	v_rcp_f32_e32 v7, v7                                       // 000000005E20: 7E0E4507
	v_mul_f32_e32 v80, v80, v4                                 // 000000005E24: 0AA00950
	v_mul_f32_e32 v81, v81, v5                                 // 000000005E28: 0AA20B51
	v_mul_f32_e32 v82, v82, v6                                 // 000000005E2C: 0AA40D52
	v_mul_f32_e32 v83, v83, v7                                 // 000000005E30: 0AA60F53
	v_mul_f32_e32 v80, v80, v128                               // 000000005E34: 0AA10150
	v_mul_f32_e32 v81, v81, v129                               // 000000005E38: 0AA30351
	v_mul_f32_e32 v82, v82, v130                               // 000000005E3C: 0AA50552
	v_mul_f32_e32 v83, v83, v131                               // 000000005E40: 0AA70753
	v_mul_f32_e64 v4, -v84, s6                                 // 000000005E44: D1050004 20000D54
	v_mul_f32_e64 v5, -v85, s6                                 // 000000005E4C: D1050005 20000D55
	v_mul_f32_e64 v6, -v86, s6                                 // 000000005E54: D1050006 20000D56
	v_mul_f32_e64 v7, -v87, s6                                 // 000000005E5C: D1050007 20000D57
	v_exp_f32_e32 v4, v4                                       // 000000005E64: 7E084104
	v_exp_f32_e32 v5, v5                                       // 000000005E68: 7E0A4105
	v_exp_f32_e32 v6, v6                                       // 000000005E6C: 7E0C4106
	v_exp_f32_e32 v7, v7                                       // 000000005E70: 7E0E4107
	v_add_f32_e64 v4, v4, 1.0                                  // 000000005E74: D1010004 0001E504
	v_add_f32_e64 v5, v5, 1.0                                  // 000000005E7C: D1010005 0001E505
	v_add_f32_e64 v6, v6, 1.0                                  // 000000005E84: D1010006 0001E506
	v_add_f32_e64 v7, v7, 1.0                                  // 000000005E8C: D1010007 0001E507
	v_rcp_f32_e32 v4, v4                                       // 000000005E94: 7E084504
	v_rcp_f32_e32 v5, v5                                       // 000000005E98: 7E0A4505
	v_rcp_f32_e32 v6, v6                                       // 000000005E9C: 7E0C4506
	v_rcp_f32_e32 v7, v7                                       // 000000005EA0: 7E0E4507
	v_mul_f32_e32 v84, v84, v4                                 // 000000005EA4: 0AA80954
	v_mul_f32_e32 v85, v85, v5                                 // 000000005EA8: 0AAA0B55
	v_mul_f32_e32 v86, v86, v6                                 // 000000005EAC: 0AAC0D56
	v_mul_f32_e32 v87, v87, v7                                 // 000000005EB0: 0AAE0F57
	v_mul_f32_e32 v84, v84, v132                               // 000000005EB4: 0AA90954
	v_mul_f32_e32 v85, v85, v133                               // 000000005EB8: 0AAB0B55
	v_mul_f32_e32 v86, v86, v134                               // 000000005EBC: 0AAD0D56
	v_mul_f32_e32 v87, v87, v135                               // 000000005EC0: 0AAF0F57
	v_mul_f32_e64 v4, -v88, s6                                 // 000000005EC4: D1050004 20000D58
	v_mul_f32_e64 v5, -v89, s6                                 // 000000005ECC: D1050005 20000D59
	v_mul_f32_e64 v6, -v90, s6                                 // 000000005ED4: D1050006 20000D5A
	v_mul_f32_e64 v7, -v91, s6                                 // 000000005EDC: D1050007 20000D5B
	v_exp_f32_e32 v4, v4                                       // 000000005EE4: 7E084104
	v_exp_f32_e32 v5, v5                                       // 000000005EE8: 7E0A4105
	v_exp_f32_e32 v6, v6                                       // 000000005EEC: 7E0C4106
	v_exp_f32_e32 v7, v7                                       // 000000005EF0: 7E0E4107
	v_add_f32_e64 v4, v4, 1.0                                  // 000000005EF4: D1010004 0001E504
	v_add_f32_e64 v5, v5, 1.0                                  // 000000005EFC: D1010005 0001E505
	v_add_f32_e64 v6, v6, 1.0                                  // 000000005F04: D1010006 0001E506
	v_add_f32_e64 v7, v7, 1.0                                  // 000000005F0C: D1010007 0001E507
	v_rcp_f32_e32 v4, v4                                       // 000000005F14: 7E084504
	v_rcp_f32_e32 v5, v5                                       // 000000005F18: 7E0A4505
	v_rcp_f32_e32 v6, v6                                       // 000000005F1C: 7E0C4506
	v_rcp_f32_e32 v7, v7                                       // 000000005F20: 7E0E4507
	v_mul_f32_e32 v88, v88, v4                                 // 000000005F24: 0AB00958
	v_mul_f32_e32 v89, v89, v5                                 // 000000005F28: 0AB20B59
	v_mul_f32_e32 v90, v90, v6                                 // 000000005F2C: 0AB40D5A
	v_mul_f32_e32 v91, v91, v7                                 // 000000005F30: 0AB60F5B
	v_mul_f32_e32 v88, v88, v136                               // 000000005F34: 0AB11158
	v_mul_f32_e32 v89, v89, v137                               // 000000005F38: 0AB31359
	v_mul_f32_e32 v90, v90, v138                               // 000000005F3C: 0AB5155A
	v_mul_f32_e32 v91, v91, v139                               // 000000005F40: 0AB7175B
	v_mul_f32_e64 v4, -v92, s6                                 // 000000005F44: D1050004 20000D5C
	v_mul_f32_e64 v5, -v93, s6                                 // 000000005F4C: D1050005 20000D5D
	v_mul_f32_e64 v6, -v94, s6                                 // 000000005F54: D1050006 20000D5E
	v_mul_f32_e64 v7, -v95, s6                                 // 000000005F5C: D1050007 20000D5F
	v_exp_f32_e32 v4, v4                                       // 000000005F64: 7E084104
	v_exp_f32_e32 v5, v5                                       // 000000005F68: 7E0A4105
	v_exp_f32_e32 v6, v6                                       // 000000005F6C: 7E0C4106
	v_exp_f32_e32 v7, v7                                       // 000000005F70: 7E0E4107
	v_add_f32_e64 v4, v4, 1.0                                  // 000000005F74: D1010004 0001E504
	v_add_f32_e64 v5, v5, 1.0                                  // 000000005F7C: D1010005 0001E505
	v_add_f32_e64 v6, v6, 1.0                                  // 000000005F84: D1010006 0001E506
	v_add_f32_e64 v7, v7, 1.0                                  // 000000005F8C: D1010007 0001E507
	v_rcp_f32_e32 v4, v4                                       // 000000005F94: 7E084504
	v_rcp_f32_e32 v5, v5                                       // 000000005F98: 7E0A4505
	v_rcp_f32_e32 v6, v6                                       // 000000005F9C: 7E0C4506
	v_rcp_f32_e32 v7, v7                                       // 000000005FA0: 7E0E4507
	v_mul_f32_e32 v92, v92, v4                                 // 000000005FA4: 0AB8095C
	v_mul_f32_e32 v93, v93, v5                                 // 000000005FA8: 0ABA0B5D
	v_mul_f32_e32 v94, v94, v6                                 // 000000005FAC: 0ABC0D5E
	v_mul_f32_e32 v95, v95, v7                                 // 000000005FB0: 0ABE0F5F
	v_mul_f32_e32 v92, v92, v140                               // 000000005FB4: 0AB9195C
	v_mul_f32_e32 v93, v93, v141                               // 000000005FB8: 0ABB1B5D
	v_mul_f32_e32 v94, v94, v142                               // 000000005FBC: 0ABD1D5E
	v_mul_f32_e32 v95, v95, v143                               // 000000005FC0: 0ABF1F5F
	v_mul_f32_e64 v4, -v96, s6                                 // 000000005FC4: D1050004 20000D60
	v_mul_f32_e64 v5, -v97, s6                                 // 000000005FCC: D1050005 20000D61
	v_mul_f32_e64 v6, -v98, s6                                 // 000000005FD4: D1050006 20000D62
	v_mul_f32_e64 v7, -v99, s6                                 // 000000005FDC: D1050007 20000D63
	v_exp_f32_e32 v4, v4                                       // 000000005FE4: 7E084104
	v_exp_f32_e32 v5, v5                                       // 000000005FE8: 7E0A4105
	v_exp_f32_e32 v6, v6                                       // 000000005FEC: 7E0C4106
	v_exp_f32_e32 v7, v7                                       // 000000005FF0: 7E0E4107
	v_add_f32_e64 v4, v4, 1.0                                  // 000000005FF4: D1010004 0001E504
	v_add_f32_e64 v5, v5, 1.0                                  // 000000005FFC: D1010005 0001E505
	v_add_f32_e64 v6, v6, 1.0                                  // 000000006004: D1010006 0001E506
	v_add_f32_e64 v7, v7, 1.0                                  // 00000000600C: D1010007 0001E507
	v_rcp_f32_e32 v4, v4                                       // 000000006014: 7E084504
	v_rcp_f32_e32 v5, v5                                       // 000000006018: 7E0A4505
	v_rcp_f32_e32 v6, v6                                       // 00000000601C: 7E0C4506
	v_rcp_f32_e32 v7, v7                                       // 000000006020: 7E0E4507
	v_mul_f32_e32 v96, v96, v4                                 // 000000006024: 0AC00960
	v_mul_f32_e32 v97, v97, v5                                 // 000000006028: 0AC20B61
	v_mul_f32_e32 v98, v98, v6                                 // 00000000602C: 0AC40D62
	v_mul_f32_e32 v99, v99, v7                                 // 000000006030: 0AC60F63
	v_mul_f32_e32 v96, v96, v144                               // 000000006034: 0AC12160
	v_mul_f32_e32 v97, v97, v145                               // 000000006038: 0AC32361
	v_mul_f32_e32 v98, v98, v146                               // 00000000603C: 0AC52562
	v_mul_f32_e32 v99, v99, v147                               // 000000006040: 0AC72763

0000000000006044 <label_0D91>:
	v_cmp_u_f32_e64 s[46:47], v52, v52                         // 000000006044: D048002E 00026934
	v_add3_u32 v16, v52, v19, 1                                // 00000000604C: D1FF0010 02062734
	v_cndmask_b32_e64 v4, v16, v18, s[46:47]                   // 000000006054: D1000004 00BA2510
	v_cmp_u_f32_e64 s[46:47], v53, v53                         // 00000000605C: D048002E 00026B35
	v_add3_u32 v16, v53, v19, 1                                // 000000006064: D1FF0010 02062735
	v_cndmask_b32_e64 v5, v16, v18, s[46:47]                   // 00000000606C: D1000005 00BA2510
	v_perm_b32 v52, v5, v4, s52                                // 000000006074: D1ED0034 00D20905
	v_cmp_u_f32_e64 s[46:47], v54, v54                         // 00000000607C: D048002E 00026D36
	v_add3_u32 v16, v54, v19, 1                                // 000000006084: D1FF0010 02062736
	v_cndmask_b32_e64 v4, v16, v18, s[46:47]                   // 00000000608C: D1000004 00BA2510
	v_cmp_u_f32_e64 s[46:47], v55, v55                         // 000000006094: D048002E 00026F37
	v_add3_u32 v16, v55, v19, 1                                // 00000000609C: D1FF0010 02062737
	v_cndmask_b32_e64 v5, v16, v18, s[46:47]                   // 0000000060A4: D1000005 00BA2510
	v_perm_b32 v53, v5, v4, s52                                // 0000000060AC: D1ED0035 00D20905
	v_cmp_u_f32_e64 s[46:47], v56, v56                         // 0000000060B4: D048002E 00027138
	v_add3_u32 v16, v56, v19, 1                                // 0000000060BC: D1FF0010 02062738
	v_cndmask_b32_e64 v4, v16, v18, s[46:47]                   // 0000000060C4: D1000004 00BA2510
	v_cmp_u_f32_e64 s[46:47], v57, v57                         // 0000000060CC: D048002E 00027339
	v_add3_u32 v16, v57, v19, 1                                // 0000000060D4: D1FF0010 02062739
	v_cndmask_b32_e64 v5, v16, v18, s[46:47]                   // 0000000060DC: D1000005 00BA2510
	v_perm_b32 v54, v5, v4, s52                                // 0000000060E4: D1ED0036 00D20905
	v_cmp_u_f32_e64 s[46:47], v58, v58                         // 0000000060EC: D048002E 0002753A
	v_add3_u32 v16, v58, v19, 1                                // 0000000060F4: D1FF0010 0206273A
	v_cndmask_b32_e64 v4, v16, v18, s[46:47]                   // 0000000060FC: D1000004 00BA2510
	v_cmp_u_f32_e64 s[46:47], v59, v59                         // 000000006104: D048002E 0002773B
	v_add3_u32 v16, v59, v19, 1                                // 00000000610C: D1FF0010 0206273B
	v_cndmask_b32_e64 v5, v16, v18, s[46:47]                   // 000000006114: D1000005 00BA2510
	v_perm_b32 v55, v5, v4, s52                                // 00000000611C: D1ED0037 00D20905
	v_cmp_u_f32_e64 s[46:47], v60, v60                         // 000000006124: D048002E 0002793C
	v_add3_u32 v16, v60, v19, 1                                // 00000000612C: D1FF0010 0206273C
	v_cndmask_b32_e64 v4, v16, v18, s[46:47]                   // 000000006134: D1000004 00BA2510
	v_cmp_u_f32_e64 s[46:47], v61, v61                         // 00000000613C: D048002E 00027B3D
	v_add3_u32 v16, v61, v19, 1                                // 000000006144: D1FF0010 0206273D
	v_cndmask_b32_e64 v5, v16, v18, s[46:47]                   // 00000000614C: D1000005 00BA2510
	v_perm_b32 v56, v5, v4, s52                                // 000000006154: D1ED0038 00D20905
	v_cmp_u_f32_e64 s[46:47], v62, v62                         // 00000000615C: D048002E 00027D3E
	v_add3_u32 v16, v62, v19, 1                                // 000000006164: D1FF0010 0206273E
	v_cndmask_b32_e64 v4, v16, v18, s[46:47]                   // 00000000616C: D1000004 00BA2510
	v_cmp_u_f32_e64 s[46:47], v63, v63                         // 000000006174: D048002E 00027F3F
	v_add3_u32 v16, v63, v19, 1                                // 00000000617C: D1FF0010 0206273F
	v_cndmask_b32_e64 v5, v16, v18, s[46:47]                   // 000000006184: D1000005 00BA2510
	v_perm_b32 v57, v5, v4, s52                                // 00000000618C: D1ED0039 00D20905
	v_cmp_u_f32_e64 s[46:47], v64, v64                         // 000000006194: D048002E 00028140
	v_add3_u32 v16, v64, v19, 1                                // 00000000619C: D1FF0010 02062740
	v_cndmask_b32_e64 v4, v16, v18, s[46:47]                   // 0000000061A4: D1000004 00BA2510
	v_cmp_u_f32_e64 s[46:47], v65, v65                         // 0000000061AC: D048002E 00028341
	v_add3_u32 v16, v65, v19, 1                                // 0000000061B4: D1FF0010 02062741
	v_cndmask_b32_e64 v5, v16, v18, s[46:47]                   // 0000000061BC: D1000005 00BA2510
	v_perm_b32 v58, v5, v4, s52                                // 0000000061C4: D1ED003A 00D20905
	v_cmp_u_f32_e64 s[46:47], v66, v66                         // 0000000061CC: D048002E 00028542
	v_add3_u32 v16, v66, v19, 1                                // 0000000061D4: D1FF0010 02062742
	v_cndmask_b32_e64 v4, v16, v18, s[46:47]                   // 0000000061DC: D1000004 00BA2510
	v_cmp_u_f32_e64 s[46:47], v67, v67                         // 0000000061E4: D048002E 00028743
	v_add3_u32 v16, v67, v19, 1                                // 0000000061EC: D1FF0010 02062743
	v_cndmask_b32_e64 v5, v16, v18, s[46:47]                   // 0000000061F4: D1000005 00BA2510
	v_perm_b32 v59, v5, v4, s52                                // 0000000061FC: D1ED003B 00D20905
	v_cmp_u_f32_e64 s[46:47], v68, v68                         // 000000006204: D048002E 00028944
	v_add3_u32 v16, v68, v19, 1                                // 00000000620C: D1FF0010 02062744
	v_cndmask_b32_e64 v4, v16, v18, s[46:47]                   // 000000006214: D1000004 00BA2510
	v_cmp_u_f32_e64 s[46:47], v69, v69                         // 00000000621C: D048002E 00028B45
	v_add3_u32 v16, v69, v19, 1                                // 000000006224: D1FF0010 02062745
	v_cndmask_b32_e64 v5, v16, v18, s[46:47]                   // 00000000622C: D1000005 00BA2510
	v_perm_b32 v60, v5, v4, s52                                // 000000006234: D1ED003C 00D20905
	v_cmp_u_f32_e64 s[46:47], v70, v70                         // 00000000623C: D048002E 00028D46
	v_add3_u32 v16, v70, v19, 1                                // 000000006244: D1FF0010 02062746
	v_cndmask_b32_e64 v4, v16, v18, s[46:47]                   // 00000000624C: D1000004 00BA2510
	v_cmp_u_f32_e64 s[46:47], v71, v71                         // 000000006254: D048002E 00028F47
	v_add3_u32 v16, v71, v19, 1                                // 00000000625C: D1FF0010 02062747
	v_cndmask_b32_e64 v5, v16, v18, s[46:47]                   // 000000006264: D1000005 00BA2510
	v_perm_b32 v61, v5, v4, s52                                // 00000000626C: D1ED003D 00D20905
	v_cmp_u_f32_e64 s[46:47], v72, v72                         // 000000006274: D048002E 00029148
	v_add3_u32 v16, v72, v19, 1                                // 00000000627C: D1FF0010 02062748
	v_cndmask_b32_e64 v4, v16, v18, s[46:47]                   // 000000006284: D1000004 00BA2510
	v_cmp_u_f32_e64 s[46:47], v73, v73                         // 00000000628C: D048002E 00029349
	v_add3_u32 v16, v73, v19, 1                                // 000000006294: D1FF0010 02062749
	v_cndmask_b32_e64 v5, v16, v18, s[46:47]                   // 00000000629C: D1000005 00BA2510
	v_perm_b32 v62, v5, v4, s52                                // 0000000062A4: D1ED003E 00D20905
	v_cmp_u_f32_e64 s[46:47], v74, v74                         // 0000000062AC: D048002E 0002954A
	v_add3_u32 v16, v74, v19, 1                                // 0000000062B4: D1FF0010 0206274A
	v_cndmask_b32_e64 v4, v16, v18, s[46:47]                   // 0000000062BC: D1000004 00BA2510
	v_cmp_u_f32_e64 s[46:47], v75, v75                         // 0000000062C4: D048002E 0002974B
	v_add3_u32 v16, v75, v19, 1                                // 0000000062CC: D1FF0010 0206274B
	v_cndmask_b32_e64 v5, v16, v18, s[46:47]                   // 0000000062D4: D1000005 00BA2510
	v_perm_b32 v63, v5, v4, s52                                // 0000000062DC: D1ED003F 00D20905
	v_cmp_u_f32_e64 s[46:47], v76, v76                         // 0000000062E4: D048002E 0002994C
	v_add3_u32 v16, v76, v19, 1                                // 0000000062EC: D1FF0010 0206274C
	v_cndmask_b32_e64 v4, v16, v18, s[46:47]                   // 0000000062F4: D1000004 00BA2510
	v_cmp_u_f32_e64 s[46:47], v77, v77                         // 0000000062FC: D048002E 00029B4D
	v_add3_u32 v16, v77, v19, 1                                // 000000006304: D1FF0010 0206274D
	v_cndmask_b32_e64 v5, v16, v18, s[46:47]                   // 00000000630C: D1000005 00BA2510
	v_perm_b32 v64, v5, v4, s52                                // 000000006314: D1ED0040 00D20905
	v_cmp_u_f32_e64 s[46:47], v78, v78                         // 00000000631C: D048002E 00029D4E
	v_add3_u32 v16, v78, v19, 1                                // 000000006324: D1FF0010 0206274E
	v_cndmask_b32_e64 v4, v16, v18, s[46:47]                   // 00000000632C: D1000004 00BA2510
	v_cmp_u_f32_e64 s[46:47], v79, v79                         // 000000006334: D048002E 00029F4F
	v_add3_u32 v16, v79, v19, 1                                // 00000000633C: D1FF0010 0206274F
	v_cndmask_b32_e64 v5, v16, v18, s[46:47]                   // 000000006344: D1000005 00BA2510
	v_perm_b32 v65, v5, v4, s52                                // 00000000634C: D1ED0041 00D20905
	v_cmp_u_f32_e64 s[46:47], v80, v80                         // 000000006354: D048002E 0002A150
	v_add3_u32 v16, v80, v19, 1                                // 00000000635C: D1FF0010 02062750
	v_cndmask_b32_e64 v4, v16, v18, s[46:47]                   // 000000006364: D1000004 00BA2510
	v_cmp_u_f32_e64 s[46:47], v81, v81                         // 00000000636C: D048002E 0002A351
	v_add3_u32 v16, v81, v19, 1                                // 000000006374: D1FF0010 02062751
	v_cndmask_b32_e64 v5, v16, v18, s[46:47]                   // 00000000637C: D1000005 00BA2510
	v_perm_b32 v66, v5, v4, s52                                // 000000006384: D1ED0042 00D20905
	v_cmp_u_f32_e64 s[46:47], v82, v82                         // 00000000638C: D048002E 0002A552
	v_add3_u32 v16, v82, v19, 1                                // 000000006394: D1FF0010 02062752
	v_cndmask_b32_e64 v4, v16, v18, s[46:47]                   // 00000000639C: D1000004 00BA2510
	v_cmp_u_f32_e64 s[46:47], v83, v83                         // 0000000063A4: D048002E 0002A753
	v_add3_u32 v16, v83, v19, 1                                // 0000000063AC: D1FF0010 02062753
	v_cndmask_b32_e64 v5, v16, v18, s[46:47]                   // 0000000063B4: D1000005 00BA2510
	v_perm_b32 v67, v5, v4, s52                                // 0000000063BC: D1ED0043 00D20905
	v_cmp_u_f32_e64 s[46:47], v84, v84                         // 0000000063C4: D048002E 0002A954
	v_add3_u32 v16, v84, v19, 1                                // 0000000063CC: D1FF0010 02062754
	v_cndmask_b32_e64 v4, v16, v18, s[46:47]                   // 0000000063D4: D1000004 00BA2510
	v_cmp_u_f32_e64 s[46:47], v85, v85                         // 0000000063DC: D048002E 0002AB55
	v_add3_u32 v16, v85, v19, 1                                // 0000000063E4: D1FF0010 02062755
	v_cndmask_b32_e64 v5, v16, v18, s[46:47]                   // 0000000063EC: D1000005 00BA2510
	v_perm_b32 v68, v5, v4, s52                                // 0000000063F4: D1ED0044 00D20905
	v_cmp_u_f32_e64 s[46:47], v86, v86                         // 0000000063FC: D048002E 0002AD56
	v_add3_u32 v16, v86, v19, 1                                // 000000006404: D1FF0010 02062756
	v_cndmask_b32_e64 v4, v16, v18, s[46:47]                   // 00000000640C: D1000004 00BA2510
	v_cmp_u_f32_e64 s[46:47], v87, v87                         // 000000006414: D048002E 0002AF57
	v_add3_u32 v16, v87, v19, 1                                // 00000000641C: D1FF0010 02062757
	v_cndmask_b32_e64 v5, v16, v18, s[46:47]                   // 000000006424: D1000005 00BA2510
	v_perm_b32 v69, v5, v4, s52                                // 00000000642C: D1ED0045 00D20905
	v_cmp_u_f32_e64 s[46:47], v88, v88                         // 000000006434: D048002E 0002B158
	v_add3_u32 v16, v88, v19, 1                                // 00000000643C: D1FF0010 02062758
	v_cndmask_b32_e64 v4, v16, v18, s[46:47]                   // 000000006444: D1000004 00BA2510
	v_cmp_u_f32_e64 s[46:47], v89, v89                         // 00000000644C: D048002E 0002B359
	v_add3_u32 v16, v89, v19, 1                                // 000000006454: D1FF0010 02062759
	v_cndmask_b32_e64 v5, v16, v18, s[46:47]                   // 00000000645C: D1000005 00BA2510
	v_perm_b32 v70, v5, v4, s52                                // 000000006464: D1ED0046 00D20905
	v_cmp_u_f32_e64 s[46:47], v90, v90                         // 00000000646C: D048002E 0002B55A
	v_add3_u32 v16, v90, v19, 1                                // 000000006474: D1FF0010 0206275A
	v_cndmask_b32_e64 v4, v16, v18, s[46:47]                   // 00000000647C: D1000004 00BA2510
	v_cmp_u_f32_e64 s[46:47], v91, v91                         // 000000006484: D048002E 0002B75B
	v_add3_u32 v16, v91, v19, 1                                // 00000000648C: D1FF0010 0206275B
	v_cndmask_b32_e64 v5, v16, v18, s[46:47]                   // 000000006494: D1000005 00BA2510
	v_perm_b32 v71, v5, v4, s52                                // 00000000649C: D1ED0047 00D20905
	v_cmp_u_f32_e64 s[46:47], v92, v92                         // 0000000064A4: D048002E 0002B95C
	v_add3_u32 v16, v92, v19, 1                                // 0000000064AC: D1FF0010 0206275C
	v_cndmask_b32_e64 v4, v16, v18, s[46:47]                   // 0000000064B4: D1000004 00BA2510
	v_cmp_u_f32_e64 s[46:47], v93, v93                         // 0000000064BC: D048002E 0002BB5D
	v_add3_u32 v16, v93, v19, 1                                // 0000000064C4: D1FF0010 0206275D
	v_cndmask_b32_e64 v5, v16, v18, s[46:47]                   // 0000000064CC: D1000005 00BA2510
	v_perm_b32 v72, v5, v4, s52                                // 0000000064D4: D1ED0048 00D20905
	v_cmp_u_f32_e64 s[46:47], v94, v94                         // 0000000064DC: D048002E 0002BD5E
	v_add3_u32 v16, v94, v19, 1                                // 0000000064E4: D1FF0010 0206275E
	v_cndmask_b32_e64 v4, v16, v18, s[46:47]                   // 0000000064EC: D1000004 00BA2510
	v_cmp_u_f32_e64 s[46:47], v95, v95                         // 0000000064F4: D048002E 0002BF5F
	v_add3_u32 v16, v95, v19, 1                                // 0000000064FC: D1FF0010 0206275F
	v_cndmask_b32_e64 v5, v16, v18, s[46:47]                   // 000000006504: D1000005 00BA2510
	v_perm_b32 v73, v5, v4, s52                                // 00000000650C: D1ED0049 00D20905
	v_cmp_u_f32_e64 s[46:47], v96, v96                         // 000000006514: D048002E 0002C160
	v_add3_u32 v16, v96, v19, 1                                // 00000000651C: D1FF0010 02062760
	v_cndmask_b32_e64 v4, v16, v18, s[46:47]                   // 000000006524: D1000004 00BA2510
	v_cmp_u_f32_e64 s[46:47], v97, v97                         // 00000000652C: D048002E 0002C361
	v_add3_u32 v16, v97, v19, 1                                // 000000006534: D1FF0010 02062761
	v_cndmask_b32_e64 v5, v16, v18, s[46:47]                   // 00000000653C: D1000005 00BA2510
	v_perm_b32 v74, v5, v4, s52                                // 000000006544: D1ED004A 00D20905
	v_cmp_u_f32_e64 s[46:47], v98, v98                         // 00000000654C: D048002E 0002C562
	v_add3_u32 v16, v98, v19, 1                                // 000000006554: D1FF0010 02062762
	v_cndmask_b32_e64 v4, v16, v18, s[46:47]                   // 00000000655C: D1000004 00BA2510
	v_cmp_u_f32_e64 s[46:47], v99, v99                         // 000000006564: D048002E 0002C763
	v_add3_u32 v16, v99, v19, 1                                // 00000000656C: D1FF0010 02062763
	v_cndmask_b32_e64 v5, v16, v18, s[46:47]                   // 000000006574: D1000005 00BA2510
	v_perm_b32 v75, v5, v4, s52                                // 00000000657C: D1ED004B 00D20905
	ds_write_b64 v20, v[52:53]                                 // 000000006584: D89A0000 00003414
	ds_write_b64 v20, v[54:55] offset:8704                     // 00000000658C: D89A2200 00003614
	ds_write_b64 v20, v[56:57] offset:17408                    // 000000006594: D89A4400 00003814
	ds_write_b64 v20, v[58:59] offset:2176                     // 00000000659C: D89A0880 00003A14
	ds_write_b64 v20, v[60:61] offset:10880                    // 0000000065A4: D89A2A80 00003C14
	ds_write_b64 v20, v[62:63] offset:19584                    // 0000000065AC: D89A4C80 00003E14
	ds_write_b64 v20, v[64:65] offset:4352                     // 0000000065B4: D89A1100 00004014
	ds_write_b64 v20, v[66:67] offset:13056                    // 0000000065BC: D89A3300 00004214
	ds_write_b64 v20, v[68:69] offset:21760                    // 0000000065C4: D89A5500 00004414
	ds_write_b64 v20, v[70:71] offset:6528                     // 0000000065CC: D89A1980 00004614
	ds_write_b64 v20, v[72:73] offset:15232                    // 0000000065D4: D89A3B80 00004814
	ds_write_b64 v20, v[74:75] offset:23936                    // 0000000065DC: D89A5D80 00004A14
	v_lshrrev_b32_e32 v4, 5, v0                                // 0000000065E4: 20080085
	v_xor_b32_e32 v5, 1, v4                                    // 0000000065E8: 2A0A0881
	s_mul_i32 s60, s65, 2                                      // 0000000065EC: 923C8241
	s_cmp_eq_u32 s88, 0                                        // 0000000065F0: BF068058
	s_cselect_b32 s61, 1, 4                                    // 0000000065F4: 853D8481
	s_mul_i32 s60, s61, s60                                    // 0000000065F8: 923C3C3D
	v_readlane_b32 s82, v3, 0                                  // 0000000065FC: D2890052 00010103
	s_lshr_b32 s61, s82, 24                                    // 000000006604: 8F3D9852
	s_and_b32 s82, s82, 0xffffff                               // 000000006608: 8652FF52 00FFFFFF
	s_mul_i32 s82, s82, s71                                    // 000000006610: 92524752
	s_mul_i32 s61, s60, s61                                    // 000000006614: 923D3D3C
	s_add_u32 s82, s82, s61                                    // 000000006618: 80523D52
	v_mul_lo_u32 v6, v5, s82                                   // 00000000661C: D2850006 0000A505
	v_readlane_b32 s82, v3, 1                                  // 000000006624: D2890052 00010303
	s_lshr_b32 s61, s82, 24                                    // 00000000662C: 8F3D9852
	s_and_b32 s82, s82, 0xffffff                               // 000000006630: 8652FF52 00FFFFFF
	s_mul_i32 s82, s82, s71                                    // 000000006638: 92524752
	s_mul_i32 s61, s60, s61                                    // 00000000663C: 923D3D3C
	s_add_u32 s82, s82, s61                                    // 000000006640: 80523D52
	v_mul_lo_u32 v7, v4, s82                                   // 000000006644: D2850007 0000A504
	v_add_u32_e32 v42, v6, v7                                  // 00000000664C: 68540F06
	v_readlane_b32 s82, v3, 2                                  // 000000006650: D2890052 00010503
	s_lshr_b32 s61, s82, 24                                    // 000000006658: 8F3D9852
	s_and_b32 s82, s82, 0xffffff                               // 00000000665C: 8652FF52 00FFFFFF
	s_mul_i32 s82, s82, s71                                    // 000000006664: 92524752
	s_mul_i32 s61, s60, s61                                    // 000000006668: 923D3D3C
	s_add_u32 s82, s82, s61                                    // 00000000666C: 80523D52
	v_mul_lo_u32 v6, v5, s82                                   // 000000006670: D2850006 0000A505
	v_readlane_b32 s82, v3, 3                                  // 000000006678: D2890052 00010703
	s_lshr_b32 s61, s82, 24                                    // 000000006680: 8F3D9852
	s_and_b32 s82, s82, 0xffffff                               // 000000006684: 8652FF52 00FFFFFF
	s_mul_i32 s82, s82, s71                                    // 00000000668C: 92524752
	s_mul_i32 s61, s60, s61                                    // 000000006690: 923D3D3C
	s_add_u32 s82, s82, s61                                    // 000000006694: 80523D52
	v_mul_lo_u32 v7, v4, s82                                   // 000000006698: D2850007 0000A504
	v_add_u32_e32 v43, v6, v7                                  // 0000000066A0: 68560F06
	v_readlane_b32 s82, v3, 4                                  // 0000000066A4: D2890052 00010903
	s_lshr_b32 s61, s82, 24                                    // 0000000066AC: 8F3D9852
	s_and_b32 s82, s82, 0xffffff                               // 0000000066B0: 8652FF52 00FFFFFF
	s_mul_i32 s82, s82, s71                                    // 0000000066B8: 92524752
	s_mul_i32 s61, s60, s61                                    // 0000000066BC: 923D3D3C
	s_add_u32 s82, s82, s61                                    // 0000000066C0: 80523D52
	v_mul_lo_u32 v6, v5, s82                                   // 0000000066C4: D2850006 0000A505
	v_readlane_b32 s82, v3, 5                                  // 0000000066CC: D2890052 00010B03
	s_lshr_b32 s61, s82, 24                                    // 0000000066D4: 8F3D9852
	s_and_b32 s82, s82, 0xffffff                               // 0000000066D8: 8652FF52 00FFFFFF
	s_mul_i32 s82, s82, s71                                    // 0000000066E0: 92524752
	s_mul_i32 s61, s60, s61                                    // 0000000066E4: 923D3D3C
	s_add_u32 s82, s82, s61                                    // 0000000066E8: 80523D52
	v_mul_lo_u32 v7, v4, s82                                   // 0000000066EC: D2850007 0000A504
	v_add_u32_e32 v44, v6, v7                                  // 0000000066F4: 68580F06
	v_readlane_b32 s82, v3, 6                                  // 0000000066F8: D2890052 00010D03
	s_lshr_b32 s61, s82, 24                                    // 000000006700: 8F3D9852
	s_and_b32 s82, s82, 0xffffff                               // 000000006704: 8652FF52 00FFFFFF
	s_mul_i32 s82, s82, s71                                    // 00000000670C: 92524752
	s_mul_i32 s61, s60, s61                                    // 000000006710: 923D3D3C
	s_add_u32 s82, s82, s61                                    // 000000006714: 80523D52
	v_mul_lo_u32 v6, v5, s82                                   // 000000006718: D2850006 0000A505
	v_readlane_b32 s82, v3, 7                                  // 000000006720: D2890052 00010F03
	s_lshr_b32 s61, s82, 24                                    // 000000006728: 8F3D9852
	s_and_b32 s82, s82, 0xffffff                               // 00000000672C: 8652FF52 00FFFFFF
	s_mul_i32 s82, s82, s71                                    // 000000006734: 92524752
	s_mul_i32 s61, s60, s61                                    // 000000006738: 923D3D3C
	s_add_u32 s82, s82, s61                                    // 00000000673C: 80523D52
	v_mul_lo_u32 v7, v4, s82                                   // 000000006740: D2850007 0000A504
	v_add_u32_e32 v45, v6, v7                                  // 000000006748: 685A0F06
	v_readlane_b32 s82, v3, 8                                  // 00000000674C: D2890052 00011103
	s_lshr_b32 s61, s82, 24                                    // 000000006754: 8F3D9852
	s_and_b32 s82, s82, 0xffffff                               // 000000006758: 8652FF52 00FFFFFF
	s_mul_i32 s82, s82, s71                                    // 000000006760: 92524752
	s_mul_i32 s61, s60, s61                                    // 000000006764: 923D3D3C
	s_add_u32 s82, s82, s61                                    // 000000006768: 80523D52
	v_mul_lo_u32 v6, v5, s82                                   // 00000000676C: D2850006 0000A505
	v_readlane_b32 s82, v3, 9                                  // 000000006774: D2890052 00011303
	s_lshr_b32 s61, s82, 24                                    // 00000000677C: 8F3D9852
	s_and_b32 s82, s82, 0xffffff                               // 000000006780: 8652FF52 00FFFFFF
	s_mul_i32 s82, s82, s71                                    // 000000006788: 92524752
	s_mul_i32 s61, s60, s61                                    // 00000000678C: 923D3D3C
	s_add_u32 s82, s82, s61                                    // 000000006790: 80523D52
	v_mul_lo_u32 v7, v4, s82                                   // 000000006794: D2850007 0000A504
	v_add_u32_e32 v46, v6, v7                                  // 00000000679C: 685C0F06
	v_readlane_b32 s82, v3, 10                                 // 0000000067A0: D2890052 00011503
	s_lshr_b32 s61, s82, 24                                    // 0000000067A8: 8F3D9852
	s_and_b32 s82, s82, 0xffffff                               // 0000000067AC: 8652FF52 00FFFFFF
	s_mul_i32 s82, s82, s71                                    // 0000000067B4: 92524752
	s_mul_i32 s61, s60, s61                                    // 0000000067B8: 923D3D3C
	s_add_u32 s82, s82, s61                                    // 0000000067BC: 80523D52
	v_mul_lo_u32 v6, v5, s82                                   // 0000000067C0: D2850006 0000A505
	v_readlane_b32 s82, v3, 11                                 // 0000000067C8: D2890052 00011703
	s_lshr_b32 s61, s82, 24                                    // 0000000067D0: 8F3D9852
	s_and_b32 s82, s82, 0xffffff                               // 0000000067D4: 8652FF52 00FFFFFF
	s_mul_i32 s82, s82, s71                                    // 0000000067DC: 92524752
	s_mul_i32 s61, s60, s61                                    // 0000000067E0: 923D3D3C
	s_add_u32 s82, s82, s61                                    // 0000000067E4: 80523D52
	v_mul_lo_u32 v7, v4, s82                                   // 0000000067E8: D2850007 0000A504
	v_add_u32_e32 v47, v6, v7                                  // 0000000067F0: 685E0F06
	v_and_b32_e32 v4, 31, v0                                   // 0000000067F4: 2608009F
	v_lshrrev_b32_e32 v4, 1, v4                                // 0000000067F8: 20080881
	s_cmp_eq_u32 s88, 0                                        // 0000000067FC: BF068058
	s_cselect_b32 s61, 2, 4                                    // 000000006800: 853D8482
	v_mul_lo_u32 v4, v4, s61                                   // 000000006804: D2850004 00007B04
	v_and_b32_e64 v5, v0, 1                                    // 00000000680C: D1130005 00010300
	v_add_u32_e32 v4, v4, v5                                   // 000000006814: 68080B04
	v_lshlrev_b32_e32 v4, 2, v4                                // 000000006818: 24080882
	v_add_u32_e32 v42, v42, v4                                 // 00000000681C: 6854092A
	v_add_u32_e32 v43, v43, v4                                 // 000000006820: 6856092B
	v_add_u32_e32 v44, v44, v4                                 // 000000006824: 6858092C
	v_add_u32_e32 v45, v45, v4                                 // 000000006828: 685A092D
	v_add_u32_e32 v46, v46, v4                                 // 00000000682C: 685C092E
	v_add_u32_e32 v47, v47, v4                                 // 000000006830: 685E092F
	s_waitcnt lgkmcnt(0)                                       // 000000006834: BF8CC07F
	s_barrier                                                  // 000000006838: BF8A0000
	ds_read_b32 v52, v21                                       // 00000000683C: D86C0000 34000015
	ds_read_b32 v53, v21 offset:64                             // 000000006844: D86C0040 35000015
	ds_read_b32 v54, v21 offset:2176                           // 00000000684C: D86C0880 36000015
	ds_read_b32 v55, v21 offset:2240                           // 000000006854: D86C08C0 37000015
	ds_read_b32 v56, v21 offset:4352                           // 00000000685C: D86C1100 38000015
	ds_read_b32 v57, v21 offset:4416                           // 000000006864: D86C1140 39000015
	ds_read_b32 v58, v21 offset:6528                           // 00000000686C: D86C1980 3A000015
	ds_read_b32 v59, v21 offset:6592                           // 000000006874: D86C19C0 3B000015
	ds_read_b32 v60, v21 offset:8704                           // 00000000687C: D86C2200 3C000015
	ds_read_b32 v61, v21 offset:8768                           // 000000006884: D86C2240 3D000015
	ds_read_b32 v62, v21 offset:10880                          // 00000000688C: D86C2A80 3E000015
	ds_read_b32 v63, v21 offset:10944                          // 000000006894: D86C2AC0 3F000015
	ds_read_b32 v64, v21 offset:13056                          // 00000000689C: D86C3300 40000015
	ds_read_b32 v65, v21 offset:13120                          // 0000000068A4: D86C3340 41000015
	ds_read_b32 v66, v21 offset:15232                          // 0000000068AC: D86C3B80 42000015
	ds_read_b32 v67, v21 offset:15296                          // 0000000068B4: D86C3BC0 43000015
	ds_read_b32 v68, v21 offset:17408                          // 0000000068BC: D86C4400 44000015
	ds_read_b32 v69, v21 offset:17472                          // 0000000068C4: D86C4440 45000015
	ds_read_b32 v70, v21 offset:19584                          // 0000000068CC: D86C4C80 46000015
	ds_read_b32 v71, v21 offset:19648                          // 0000000068D4: D86C4CC0 47000015
	ds_read_b32 v72, v21 offset:21760                          // 0000000068DC: D86C5500 48000015
	ds_read_b32 v73, v21 offset:21824                          // 0000000068E4: D86C5540 49000015
	ds_read_b32 v74, v21 offset:23936                          // 0000000068EC: D86C5D80 4A000015
	ds_read_b32 v75, v21 offset:24000                          // 0000000068F4: D86C5DC0 4B000015
	s_waitcnt lgkmcnt(0)                                       // 0000000068FC: BF8CC07F
	s_mov_b32 s36, -1                                          // 000000006900: BEA400C1
	s_mov_b32 s37, -1                                          // 000000006904: BEA500C1
	v_mov_b32_e32 v7, 0                                        // 000000006908: 7E0E0280
	s_or_b32 s9, s9, 0x40000                                   // 00000000690C: 8709FF09 00040000
	s_mov_b64 exec, s[36:37]                                   // 000000006914: BEFE0124
	v_mov_b32_e32 v6, v42                                      // 000000006918: 7E0C032A
	s_mov_b64 s[60:61], 0                                      // 00000000691C: BEBC0180
	v_readlane_b32 s82, v3, 0                                  // 000000006920: D2890052 00010103
	s_and_b32 s82, s82, 0xffffff                               // 000000006928: 8652FF52 00FFFFFF
	s_cmp_lt_u32 s82, s66                                      // 000000006930: BF0A4252
	s_cselect_b32 s20, s36, s60                                // 000000006934: 85143C24
	v_readlane_b32 s82, v3, 1                                  // 000000006938: D2890052 00010303
	s_and_b32 s82, s82, 0xffffff                               // 000000006940: 8652FF52 00FFFFFF
	s_cmp_lt_u32 s82, s66                                      // 000000006948: BF0A4252
	s_cselect_b32 s21, s36, s60                                // 00000000694C: 85153C24
	s_mov_b64 exec, s[20:21]                                   // 000000006950: BEFE0114
	buffer_store_dword v52, v6, s[8:11], 0 offen               // 000000006954: E0701000 80023406
	buffer_store_dword v54, v6, s[8:11], 0 offen offset:128    // 00000000695C: E0701080 80023606
	buffer_store_dword v56, v6, s[8:11], 0 offen offset:256    // 000000006964: E0701100 80023806
	buffer_store_dword v58, v6, s[8:11], 0 offen offset:384    // 00000000696C: E0701180 80023A06
	s_mov_b64 exec, s[36:37]                                   // 000000006974: BEFE0124
	v_mov_b32_e32 v6, v43                                      // 000000006978: 7E0C032B
	s_mov_b64 s[60:61], 0                                      // 00000000697C: BEBC0180
	v_readlane_b32 s82, v3, 2                                  // 000000006980: D2890052 00010503
	s_and_b32 s82, s82, 0xffffff                               // 000000006988: 8652FF52 00FFFFFF
	s_cmp_lt_u32 s82, s66                                      // 000000006990: BF0A4252
	s_cselect_b32 s20, s36, s60                                // 000000006994: 85143C24
	v_readlane_b32 s82, v3, 3                                  // 000000006998: D2890052 00010703
	s_and_b32 s82, s82, 0xffffff                               // 0000000069A0: 8652FF52 00FFFFFF
	s_cmp_lt_u32 s82, s66                                      // 0000000069A8: BF0A4252
	s_cselect_b32 s21, s36, s60                                // 0000000069AC: 85153C24
	s_mov_b64 exec, s[20:21]                                   // 0000000069B0: BEFE0114
	buffer_store_dword v53, v6, s[8:11], 0 offen               // 0000000069B4: E0701000 80023506
	buffer_store_dword v55, v6, s[8:11], 0 offen offset:128    // 0000000069BC: E0701080 80023706
	buffer_store_dword v57, v6, s[8:11], 0 offen offset:256    // 0000000069C4: E0701100 80023906
	buffer_store_dword v59, v6, s[8:11], 0 offen offset:384    // 0000000069CC: E0701180 80023B06
	s_mov_b64 exec, s[36:37]                                   // 0000000069D4: BEFE0124
	v_mov_b32_e32 v6, v44                                      // 0000000069D8: 7E0C032C
	s_mov_b64 s[60:61], 0                                      // 0000000069DC: BEBC0180
	v_readlane_b32 s82, v3, 4                                  // 0000000069E0: D2890052 00010903
	s_and_b32 s82, s82, 0xffffff                               // 0000000069E8: 8652FF52 00FFFFFF
	s_cmp_lt_u32 s82, s66                                      // 0000000069F0: BF0A4252
	s_cselect_b32 s20, s36, s60                                // 0000000069F4: 85143C24
	v_readlane_b32 s82, v3, 5                                  // 0000000069F8: D2890052 00010B03
	s_and_b32 s82, s82, 0xffffff                               // 000000006A00: 8652FF52 00FFFFFF
	s_cmp_lt_u32 s82, s66                                      // 000000006A08: BF0A4252
	s_cselect_b32 s21, s36, s60                                // 000000006A0C: 85153C24
	s_mov_b64 exec, s[20:21]                                   // 000000006A10: BEFE0114
	buffer_store_dword v60, v6, s[8:11], 0 offen               // 000000006A14: E0701000 80023C06
	buffer_store_dword v62, v6, s[8:11], 0 offen offset:128    // 000000006A1C: E0701080 80023E06
	buffer_store_dword v64, v6, s[8:11], 0 offen offset:256    // 000000006A24: E0701100 80024006
	buffer_store_dword v66, v6, s[8:11], 0 offen offset:384    // 000000006A2C: E0701180 80024206
	s_mov_b64 exec, s[36:37]                                   // 000000006A34: BEFE0124
	v_mov_b32_e32 v6, v45                                      // 000000006A38: 7E0C032D
	s_mov_b64 s[60:61], 0                                      // 000000006A3C: BEBC0180
	v_readlane_b32 s82, v3, 6                                  // 000000006A40: D2890052 00010D03
	s_and_b32 s82, s82, 0xffffff                               // 000000006A48: 8652FF52 00FFFFFF
	s_cmp_lt_u32 s82, s66                                      // 000000006A50: BF0A4252
	s_cselect_b32 s20, s36, s60                                // 000000006A54: 85143C24
	v_readlane_b32 s82, v3, 7                                  // 000000006A58: D2890052 00010F03
	s_and_b32 s82, s82, 0xffffff                               // 000000006A60: 8652FF52 00FFFFFF
	s_cmp_lt_u32 s82, s66                                      // 000000006A68: BF0A4252
	s_cselect_b32 s21, s36, s60                                // 000000006A6C: 85153C24
	s_mov_b64 exec, s[20:21]                                   // 000000006A70: BEFE0114
	buffer_store_dword v61, v6, s[8:11], 0 offen               // 000000006A74: E0701000 80023D06
	buffer_store_dword v63, v6, s[8:11], 0 offen offset:128    // 000000006A7C: E0701080 80023F06
	buffer_store_dword v65, v6, s[8:11], 0 offen offset:256    // 000000006A84: E0701100 80024106
	buffer_store_dword v67, v6, s[8:11], 0 offen offset:384    // 000000006A8C: E0701180 80024306
	s_mov_b64 exec, s[36:37]                                   // 000000006A94: BEFE0124
	v_mov_b32_e32 v6, v46                                      // 000000006A98: 7E0C032E
	s_mov_b64 s[60:61], 0                                      // 000000006A9C: BEBC0180
	v_readlane_b32 s82, v3, 8                                  // 000000006AA0: D2890052 00011103
	s_and_b32 s82, s82, 0xffffff                               // 000000006AA8: 8652FF52 00FFFFFF
	s_cmp_lt_u32 s82, s66                                      // 000000006AB0: BF0A4252
	s_cselect_b32 s20, s36, s60                                // 000000006AB4: 85143C24
	v_readlane_b32 s82, v3, 9                                  // 000000006AB8: D2890052 00011303
	s_and_b32 s82, s82, 0xffffff                               // 000000006AC0: 8652FF52 00FFFFFF
	s_cmp_lt_u32 s82, s66                                      // 000000006AC8: BF0A4252
	s_cselect_b32 s21, s36, s60                                // 000000006ACC: 85153C24
	s_mov_b64 exec, s[20:21]                                   // 000000006AD0: BEFE0114
	buffer_store_dword v68, v6, s[8:11], 0 offen               // 000000006AD4: E0701000 80024406
	buffer_store_dword v70, v6, s[8:11], 0 offen offset:128    // 000000006ADC: E0701080 80024606
	buffer_store_dword v72, v6, s[8:11], 0 offen offset:256    // 000000006AE4: E0701100 80024806
	buffer_store_dword v74, v6, s[8:11], 0 offen offset:384    // 000000006AEC: E0701180 80024A06
	s_mov_b64 exec, s[36:37]                                   // 000000006AF4: BEFE0124
	v_mov_b32_e32 v6, v47                                      // 000000006AF8: 7E0C032F
	s_mov_b64 s[60:61], 0                                      // 000000006AFC: BEBC0180
	v_readlane_b32 s82, v3, 10                                 // 000000006B00: D2890052 00011503
	s_and_b32 s82, s82, 0xffffff                               // 000000006B08: 8652FF52 00FFFFFF
	s_cmp_lt_u32 s82, s66                                      // 000000006B10: BF0A4252
	s_cselect_b32 s20, s36, s60                                // 000000006B14: 85143C24
	v_readlane_b32 s82, v3, 11                                 // 000000006B18: D2890052 00011703
	s_and_b32 s82, s82, 0xffffff                               // 000000006B20: 8652FF52 00FFFFFF
	s_cmp_lt_u32 s82, s66                                      // 000000006B28: BF0A4252
	s_cselect_b32 s21, s36, s60                                // 000000006B2C: 85153C24
	s_mov_b64 exec, s[20:21]                                   // 000000006B30: BEFE0114
	buffer_store_dword v69, v6, s[8:11], 0 offen               // 000000006B34: E0701000 80024506
	buffer_store_dword v71, v6, s[8:11], 0 offen offset:128    // 000000006B3C: E0701080 80024706
	buffer_store_dword v73, v6, s[8:11], 0 offen offset:256    // 000000006B44: E0701100 80024906
	buffer_store_dword v75, v6, s[8:11], 0 offen offset:384    // 000000006B4C: E0701180 80024B06
	s_mov_b64 exec, s[36:37]                                   // 000000006B54: BEFE0124
	s_branch label_266E                                        // 000000006B58: BF821614

0000000000006b5c <label_1057>:
	ds_write_b64 v20, v[52:53]                                 // 000000006B5C: D89A0000 00003414
	ds_write_b64 v20, v[56:57] offset:8704                     // 000000006B64: D89A2200 00003814
	ds_write_b64 v20, v[60:61] offset:17408                    // 000000006B6C: D89A4400 00003C14
	ds_write_b64 v20, v[64:65] offset:2176                     // 000000006B74: D89A0880 00004014
	ds_write_b64 v20, v[68:69] offset:10880                    // 000000006B7C: D89A2A80 00004414
	ds_write_b64 v20, v[72:73] offset:19584                    // 000000006B84: D89A4C80 00004814
	ds_write_b64 v20, v[76:77] offset:4352                     // 000000006B8C: D89A1100 00004C14
	ds_write_b64 v20, v[80:81] offset:13056                    // 000000006B94: D89A3300 00005014
	ds_write_b64 v20, v[84:85] offset:21760                    // 000000006B9C: D89A5500 00005414
	ds_write_b64 v20, v[88:89] offset:6528                     // 000000006BA4: D89A1980 00005814
	ds_write_b64 v20, v[92:93] offset:15232                    // 000000006BAC: D89A3B80 00005C14
	ds_write_b64 v20, v[96:97] offset:23936                    // 000000006BB4: D89A5D80 00006014
	v_lshrrev_b32_e32 v4, 5, v0                                // 000000006BBC: 20080085
	v_xor_b32_e32 v5, 1, v4                                    // 000000006BC0: 2A0A0881
	s_mul_i32 s60, s65, 2                                      // 000000006BC4: 923C8241
	s_cmp_eq_u32 s88, 0                                        // 000000006BC8: BF068058
	s_cselect_b32 s61, 1, 4                                    // 000000006BCC: 853D8481
	s_mul_i32 s60, s61, s60                                    // 000000006BD0: 923C3C3D
	v_readlane_b32 s82, v3, 0                                  // 000000006BD4: D2890052 00010103
	s_lshr_b32 s61, s82, 24                                    // 000000006BDC: 8F3D9852
	s_and_b32 s82, s82, 0xffffff                               // 000000006BE0: 8652FF52 00FFFFFF
	s_mul_i32 s82, s82, s71                                    // 000000006BE8: 92524752
	s_mul_i32 s61, s60, s61                                    // 000000006BEC: 923D3D3C
	s_add_u32 s82, s82, s61                                    // 000000006BF0: 80523D52
	v_mul_lo_u32 v6, v5, s82                                   // 000000006BF4: D2850006 0000A505
	v_readlane_b32 s82, v3, 1                                  // 000000006BFC: D2890052 00010303
	s_lshr_b32 s61, s82, 24                                    // 000000006C04: 8F3D9852
	s_and_b32 s82, s82, 0xffffff                               // 000000006C08: 8652FF52 00FFFFFF
	s_mul_i32 s82, s82, s71                                    // 000000006C10: 92524752
	s_mul_i32 s61, s60, s61                                    // 000000006C14: 923D3D3C
	s_add_u32 s82, s82, s61                                    // 000000006C18: 80523D52
	v_mul_lo_u32 v7, v4, s82                                   // 000000006C1C: D2850007 0000A504
	v_add_u32_e32 v42, v6, v7                                  // 000000006C24: 68540F06
	v_readlane_b32 s82, v3, 2                                  // 000000006C28: D2890052 00010503
	s_lshr_b32 s61, s82, 24                                    // 000000006C30: 8F3D9852
	s_and_b32 s82, s82, 0xffffff                               // 000000006C34: 8652FF52 00FFFFFF
	s_mul_i32 s82, s82, s71                                    // 000000006C3C: 92524752
	s_mul_i32 s61, s60, s61                                    // 000000006C40: 923D3D3C
	s_add_u32 s82, s82, s61                                    // 000000006C44: 80523D52
	v_mul_lo_u32 v6, v5, s82                                   // 000000006C48: D2850006 0000A505
	v_readlane_b32 s82, v3, 3                                  // 000000006C50: D2890052 00010703
	s_lshr_b32 s61, s82, 24                                    // 000000006C58: 8F3D9852
	s_and_b32 s82, s82, 0xffffff                               // 000000006C5C: 8652FF52 00FFFFFF
	s_mul_i32 s82, s82, s71                                    // 000000006C64: 92524752
	s_mul_i32 s61, s60, s61                                    // 000000006C68: 923D3D3C
	s_add_u32 s82, s82, s61                                    // 000000006C6C: 80523D52
	v_mul_lo_u32 v7, v4, s82                                   // 000000006C70: D2850007 0000A504
	v_add_u32_e32 v43, v6, v7                                  // 000000006C78: 68560F06
	v_readlane_b32 s82, v3, 4                                  // 000000006C7C: D2890052 00010903
	s_lshr_b32 s61, s82, 24                                    // 000000006C84: 8F3D9852
	s_and_b32 s82, s82, 0xffffff                               // 000000006C88: 8652FF52 00FFFFFF
	s_mul_i32 s82, s82, s71                                    // 000000006C90: 92524752
	s_mul_i32 s61, s60, s61                                    // 000000006C94: 923D3D3C
	s_add_u32 s82, s82, s61                                    // 000000006C98: 80523D52
	v_mul_lo_u32 v6, v5, s82                                   // 000000006C9C: D2850006 0000A505
	v_readlane_b32 s82, v3, 5                                  // 000000006CA4: D2890052 00010B03
	s_lshr_b32 s61, s82, 24                                    // 000000006CAC: 8F3D9852
	s_and_b32 s82, s82, 0xffffff                               // 000000006CB0: 8652FF52 00FFFFFF
	s_mul_i32 s82, s82, s71                                    // 000000006CB8: 92524752
	s_mul_i32 s61, s60, s61                                    // 000000006CBC: 923D3D3C
	s_add_u32 s82, s82, s61                                    // 000000006CC0: 80523D52
	v_mul_lo_u32 v7, v4, s82                                   // 000000006CC4: D2850007 0000A504
	v_add_u32_e32 v44, v6, v7                                  // 000000006CCC: 68580F06
	v_readlane_b32 s82, v3, 6                                  // 000000006CD0: D2890052 00010D03
	s_lshr_b32 s61, s82, 24                                    // 000000006CD8: 8F3D9852
	s_and_b32 s82, s82, 0xffffff                               // 000000006CDC: 8652FF52 00FFFFFF
	s_mul_i32 s82, s82, s71                                    // 000000006CE4: 92524752
	s_mul_i32 s61, s60, s61                                    // 000000006CE8: 923D3D3C
	s_add_u32 s82, s82, s61                                    // 000000006CEC: 80523D52
	v_mul_lo_u32 v6, v5, s82                                   // 000000006CF0: D2850006 0000A505
	v_readlane_b32 s82, v3, 7                                  // 000000006CF8: D2890052 00010F03
	s_lshr_b32 s61, s82, 24                                    // 000000006D00: 8F3D9852
	s_and_b32 s82, s82, 0xffffff                               // 000000006D04: 8652FF52 00FFFFFF
	s_mul_i32 s82, s82, s71                                    // 000000006D0C: 92524752
	s_mul_i32 s61, s60, s61                                    // 000000006D10: 923D3D3C
	s_add_u32 s82, s82, s61                                    // 000000006D14: 80523D52
	v_mul_lo_u32 v7, v4, s82                                   // 000000006D18: D2850007 0000A504
	v_add_u32_e32 v45, v6, v7                                  // 000000006D20: 685A0F06
	v_readlane_b32 s82, v3, 8                                  // 000000006D24: D2890052 00011103
	s_lshr_b32 s61, s82, 24                                    // 000000006D2C: 8F3D9852
	s_and_b32 s82, s82, 0xffffff                               // 000000006D30: 8652FF52 00FFFFFF
	s_mul_i32 s82, s82, s71                                    // 000000006D38: 92524752
	s_mul_i32 s61, s60, s61                                    // 000000006D3C: 923D3D3C
	s_add_u32 s82, s82, s61                                    // 000000006D40: 80523D52
	v_mul_lo_u32 v6, v5, s82                                   // 000000006D44: D2850006 0000A505
	v_readlane_b32 s82, v3, 9                                  // 000000006D4C: D2890052 00011303
	s_lshr_b32 s61, s82, 24                                    // 000000006D54: 8F3D9852
	s_and_b32 s82, s82, 0xffffff                               // 000000006D58: 8652FF52 00FFFFFF
	s_mul_i32 s82, s82, s71                                    // 000000006D60: 92524752
	s_mul_i32 s61, s60, s61                                    // 000000006D64: 923D3D3C
	s_add_u32 s82, s82, s61                                    // 000000006D68: 80523D52
	v_mul_lo_u32 v7, v4, s82                                   // 000000006D6C: D2850007 0000A504
	v_add_u32_e32 v46, v6, v7                                  // 000000006D74: 685C0F06
	v_readlane_b32 s82, v3, 10                                 // 000000006D78: D2890052 00011503
	s_lshr_b32 s61, s82, 24                                    // 000000006D80: 8F3D9852
	s_and_b32 s82, s82, 0xffffff                               // 000000006D84: 8652FF52 00FFFFFF
	s_mul_i32 s82, s82, s71                                    // 000000006D8C: 92524752
	s_mul_i32 s61, s60, s61                                    // 000000006D90: 923D3D3C
	s_add_u32 s82, s82, s61                                    // 000000006D94: 80523D52
	v_mul_lo_u32 v6, v5, s82                                   // 000000006D98: D2850006 0000A505
	v_readlane_b32 s82, v3, 11                                 // 000000006DA0: D2890052 00011703
	s_lshr_b32 s61, s82, 24                                    // 000000006DA8: 8F3D9852
	s_and_b32 s82, s82, 0xffffff                               // 000000006DAC: 8652FF52 00FFFFFF
	s_mul_i32 s82, s82, s71                                    // 000000006DB4: 92524752
	s_mul_i32 s61, s60, s61                                    // 000000006DB8: 923D3D3C
	s_add_u32 s82, s82, s61                                    // 000000006DBC: 80523D52
	v_mul_lo_u32 v7, v4, s82                                   // 000000006DC0: D2850007 0000A504
	v_add_u32_e32 v47, v6, v7                                  // 000000006DC8: 685E0F06
	v_and_b32_e32 v4, 31, v0                                   // 000000006DCC: 2608009F
	v_lshrrev_b32_e32 v4, 1, v4                                // 000000006DD0: 20080881
	s_cmp_eq_u32 s88, 0                                        // 000000006DD4: BF068058
	s_cselect_b32 s61, 2, 4                                    // 000000006DD8: 853D8482
	v_mul_lo_u32 v4, v4, s61                                   // 000000006DDC: D2850004 00007B04
	v_and_b32_e64 v5, v0, 1                                    // 000000006DE4: D1130005 00010300
	v_add_u32_e32 v4, v4, v5                                   // 000000006DEC: 68080B04
	v_lshlrev_b32_e32 v4, 2, v4                                // 000000006DF0: 24080882
	v_add_u32_e32 v42, v42, v4                                 // 000000006DF4: 6854092A
	v_add_u32_e32 v43, v43, v4                                 // 000000006DF8: 6856092B
	v_add_u32_e32 v44, v44, v4                                 // 000000006DFC: 6858092C
	v_add_u32_e32 v45, v45, v4                                 // 000000006E00: 685A092D
	v_add_u32_e32 v46, v46, v4                                 // 000000006E04: 685C092E
	v_add_u32_e32 v47, v47, v4                                 // 000000006E08: 685E092F
	s_waitcnt lgkmcnt(0)                                       // 000000006E0C: BF8CC07F
	s_barrier                                                  // 000000006E10: BF8A0000
	ds_read_b32 v52, v21                                       // 000000006E14: D86C0000 34000015
	ds_read_b32 v53, v21 offset:64                             // 000000006E1C: D86C0040 35000015
	ds_read_b32 v56, v21 offset:2176                           // 000000006E24: D86C0880 38000015
	ds_read_b32 v57, v21 offset:2240                           // 000000006E2C: D86C08C0 39000015
	ds_read_b32 v60, v21 offset:4352                           // 000000006E34: D86C1100 3C000015
	ds_read_b32 v61, v21 offset:4416                           // 000000006E3C: D86C1140 3D000015
	ds_read_b32 v64, v21 offset:6528                           // 000000006E44: D86C1980 40000015
	ds_read_b32 v65, v21 offset:6592                           // 000000006E4C: D86C19C0 41000015
	ds_read_b32 v68, v21 offset:8704                           // 000000006E54: D86C2200 44000015
	ds_read_b32 v69, v21 offset:8768                           // 000000006E5C: D86C2240 45000015
	ds_read_b32 v72, v21 offset:10880                          // 000000006E64: D86C2A80 48000015
	ds_read_b32 v73, v21 offset:10944                          // 000000006E6C: D86C2AC0 49000015
	ds_read_b32 v76, v21 offset:13056                          // 000000006E74: D86C3300 4C000015
	ds_read_b32 v77, v21 offset:13120                          // 000000006E7C: D86C3340 4D000015
	ds_read_b32 v80, v21 offset:15232                          // 000000006E84: D86C3B80 50000015
	ds_read_b32 v81, v21 offset:15296                          // 000000006E8C: D86C3BC0 51000015
	ds_read_b32 v84, v21 offset:17408                          // 000000006E94: D86C4400 54000015
	ds_read_b32 v85, v21 offset:17472                          // 000000006E9C: D86C4440 55000015
	ds_read_b32 v88, v21 offset:19584                          // 000000006EA4: D86C4C80 58000015
	ds_read_b32 v89, v21 offset:19648                          // 000000006EAC: D86C4CC0 59000015
	ds_read_b32 v92, v21 offset:21760                          // 000000006EB4: D86C5500 5C000015
	ds_read_b32 v93, v21 offset:21824                          // 000000006EBC: D86C5540 5D000015
	ds_read_b32 v96, v21 offset:23936                          // 000000006EC4: D86C5D80 60000015
	ds_read_b32 v97, v21 offset:24000                          // 000000006ECC: D86C5DC0 61000015
	s_waitcnt lgkmcnt(0)                                       // 000000006ED4: BF8CC07F
	s_mov_b32 s36, -1                                          // 000000006ED8: BEA400C1
	s_mov_b32 s37, -1                                          // 000000006EDC: BEA500C1
	v_mov_b32_e32 v7, 0                                        // 000000006EE0: 7E0E0280
	s_mov_b64 exec, s[36:37]                                   // 000000006EE4: BEFE0124
	v_mov_b32_e32 v6, v42                                      // 000000006EE8: 7E0C032A
	s_mov_b64 s[60:61], 0                                      // 000000006EEC: BEBC0180
	v_readlane_b32 s82, v3, 0                                  // 000000006EF0: D2890052 00010103
	s_and_b32 s82, s82, 0xffffff                               // 000000006EF8: 8652FF52 00FFFFFF
	s_cmp_lt_u32 s82, s66                                      // 000000006F00: BF0A4252
	s_cselect_b32 s20, s36, s60                                // 000000006F04: 85143C24
	v_readlane_b32 s82, v3, 1                                  // 000000006F08: D2890052 00010303
	s_and_b32 s82, s82, 0xffffff                               // 000000006F10: 8652FF52 00FFFFFF
	s_cmp_lt_u32 s82, s66                                      // 000000006F18: BF0A4252
	s_cselect_b32 s21, s36, s60                                // 000000006F1C: 85153C24
	s_mov_b64 exec, s[20:21]                                   // 000000006F20: BEFE0114
	global_atomic_add_f32 v6, v52, s[8:9]                      // 000000006F24: DD348000 00083406
	global_atomic_add_f32 v6, v56, s[8:9] offset:256           // 000000006F2C: DD348100 00083806
	global_atomic_add_f32 v6, v60, s[8:9] offset:512           // 000000006F34: DD348200 00083C06
	global_atomic_add_f32 v6, v64, s[8:9] offset:768           // 000000006F3C: DD348300 00084006
	s_mov_b64 exec, s[36:37]                                   // 000000006F44: BEFE0124
	v_mov_b32_e32 v6, v43                                      // 000000006F48: 7E0C032B
	s_mov_b64 s[60:61], 0                                      // 000000006F4C: BEBC0180
	v_readlane_b32 s82, v3, 2                                  // 000000006F50: D2890052 00010503
	s_and_b32 s82, s82, 0xffffff                               // 000000006F58: 8652FF52 00FFFFFF
	s_cmp_lt_u32 s82, s66                                      // 000000006F60: BF0A4252
	s_cselect_b32 s20, s36, s60                                // 000000006F64: 85143C24
	v_readlane_b32 s82, v3, 3                                  // 000000006F68: D2890052 00010703
	s_and_b32 s82, s82, 0xffffff                               // 000000006F70: 8652FF52 00FFFFFF
	s_cmp_lt_u32 s82, s66                                      // 000000006F78: BF0A4252
	s_cselect_b32 s21, s36, s60                                // 000000006F7C: 85153C24
	s_mov_b64 exec, s[20:21]                                   // 000000006F80: BEFE0114
	global_atomic_add_f32 v6, v53, s[8:9]                      // 000000006F84: DD348000 00083506
	global_atomic_add_f32 v6, v57, s[8:9] offset:256           // 000000006F8C: DD348100 00083906
	global_atomic_add_f32 v6, v61, s[8:9] offset:512           // 000000006F94: DD348200 00083D06
	global_atomic_add_f32 v6, v65, s[8:9] offset:768           // 000000006F9C: DD348300 00084106
	s_mov_b64 exec, s[36:37]                                   // 000000006FA4: BEFE0124
	v_mov_b32_e32 v6, v44                                      // 000000006FA8: 7E0C032C
	s_mov_b64 s[60:61], 0                                      // 000000006FAC: BEBC0180
	v_readlane_b32 s82, v3, 4                                  // 000000006FB0: D2890052 00010903
	s_and_b32 s82, s82, 0xffffff                               // 000000006FB8: 8652FF52 00FFFFFF
	s_cmp_lt_u32 s82, s66                                      // 000000006FC0: BF0A4252
	s_cselect_b32 s20, s36, s60                                // 000000006FC4: 85143C24
	v_readlane_b32 s82, v3, 5                                  // 000000006FC8: D2890052 00010B03
	s_and_b32 s82, s82, 0xffffff                               // 000000006FD0: 8652FF52 00FFFFFF
	s_cmp_lt_u32 s82, s66                                      // 000000006FD8: BF0A4252
	s_cselect_b32 s21, s36, s60                                // 000000006FDC: 85153C24
	s_mov_b64 exec, s[20:21]                                   // 000000006FE0: BEFE0114
	global_atomic_add_f32 v6, v68, s[8:9]                      // 000000006FE4: DD348000 00084406
	global_atomic_add_f32 v6, v72, s[8:9] offset:256           // 000000006FEC: DD348100 00084806
	global_atomic_add_f32 v6, v76, s[8:9] offset:512           // 000000006FF4: DD348200 00084C06
	global_atomic_add_f32 v6, v80, s[8:9] offset:768           // 000000006FFC: DD348300 00085006
	s_mov_b64 exec, s[36:37]                                   // 000000007004: BEFE0124
	v_mov_b32_e32 v6, v45                                      // 000000007008: 7E0C032D
	s_mov_b64 s[60:61], 0                                      // 00000000700C: BEBC0180
	v_readlane_b32 s82, v3, 6                                  // 000000007010: D2890052 00010D03
	s_and_b32 s82, s82, 0xffffff                               // 000000007018: 8652FF52 00FFFFFF
	s_cmp_lt_u32 s82, s66                                      // 000000007020: BF0A4252
	s_cselect_b32 s20, s36, s60                                // 000000007024: 85143C24
	v_readlane_b32 s82, v3, 7                                  // 000000007028: D2890052 00010F03
	s_and_b32 s82, s82, 0xffffff                               // 000000007030: 8652FF52 00FFFFFF
	s_cmp_lt_u32 s82, s66                                      // 000000007038: BF0A4252
	s_cselect_b32 s21, s36, s60                                // 00000000703C: 85153C24
	s_mov_b64 exec, s[20:21]                                   // 000000007040: BEFE0114
	global_atomic_add_f32 v6, v69, s[8:9]                      // 000000007044: DD348000 00084506
	global_atomic_add_f32 v6, v73, s[8:9] offset:256           // 00000000704C: DD348100 00084906
	global_atomic_add_f32 v6, v77, s[8:9] offset:512           // 000000007054: DD348200 00084D06
	global_atomic_add_f32 v6, v81, s[8:9] offset:768           // 00000000705C: DD348300 00085106
	s_mov_b64 exec, s[36:37]                                   // 000000007064: BEFE0124
	v_mov_b32_e32 v6, v46                                      // 000000007068: 7E0C032E
	s_mov_b64 s[60:61], 0                                      // 00000000706C: BEBC0180
	v_readlane_b32 s82, v3, 8                                  // 000000007070: D2890052 00011103
	s_and_b32 s82, s82, 0xffffff                               // 000000007078: 8652FF52 00FFFFFF
	s_cmp_lt_u32 s82, s66                                      // 000000007080: BF0A4252
	s_cselect_b32 s20, s36, s60                                // 000000007084: 85143C24
	v_readlane_b32 s82, v3, 9                                  // 000000007088: D2890052 00011303
	s_and_b32 s82, s82, 0xffffff                               // 000000007090: 8652FF52 00FFFFFF
	s_cmp_lt_u32 s82, s66                                      // 000000007098: BF0A4252
	s_cselect_b32 s21, s36, s60                                // 00000000709C: 85153C24
	s_mov_b64 exec, s[20:21]                                   // 0000000070A0: BEFE0114
	global_atomic_add_f32 v6, v84, s[8:9]                      // 0000000070A4: DD348000 00085406
	global_atomic_add_f32 v6, v88, s[8:9] offset:256           // 0000000070AC: DD348100 00085806
	global_atomic_add_f32 v6, v92, s[8:9] offset:512           // 0000000070B4: DD348200 00085C06
	global_atomic_add_f32 v6, v96, s[8:9] offset:768           // 0000000070BC: DD348300 00086006
	s_mov_b64 exec, s[36:37]                                   // 0000000070C4: BEFE0124
	v_mov_b32_e32 v6, v47                                      // 0000000070C8: 7E0C032F
	s_mov_b64 s[60:61], 0                                      // 0000000070CC: BEBC0180
	v_readlane_b32 s82, v3, 10                                 // 0000000070D0: D2890052 00011503
	s_and_b32 s82, s82, 0xffffff                               // 0000000070D8: 8652FF52 00FFFFFF
	s_cmp_lt_u32 s82, s66                                      // 0000000070E0: BF0A4252
	s_cselect_b32 s20, s36, s60                                // 0000000070E4: 85143C24
	v_readlane_b32 s82, v3, 11                                 // 0000000070E8: D2890052 00011703
	s_and_b32 s82, s82, 0xffffff                               // 0000000070F0: 8652FF52 00FFFFFF
	s_cmp_lt_u32 s82, s66                                      // 0000000070F8: BF0A4252
	s_cselect_b32 s21, s36, s60                                // 0000000070FC: 85153C24
	s_mov_b64 exec, s[20:21]                                   // 000000007100: BEFE0114
	global_atomic_add_f32 v6, v85, s[8:9]                      // 000000007104: DD348000 00085506
	global_atomic_add_f32 v6, v89, s[8:9] offset:256           // 00000000710C: DD348100 00085906
	global_atomic_add_f32 v6, v93, s[8:9] offset:512           // 000000007114: DD348200 00085D06
	global_atomic_add_f32 v6, v97, s[8:9] offset:768           // 00000000711C: DD348300 00086106
	s_mov_b64 exec, s[36:37]                                   // 000000007124: BEFE0124
	ds_write_b64 v20, v[54:55]                                 // 000000007128: D89A0000 00003614
	ds_write_b64 v20, v[58:59] offset:8704                     // 000000007130: D89A2200 00003A14
	ds_write_b64 v20, v[62:63] offset:17408                    // 000000007138: D89A4400 00003E14
	ds_write_b64 v20, v[66:67] offset:2176                     // 000000007140: D89A0880 00004214
	ds_write_b64 v20, v[70:71] offset:10880                    // 000000007148: D89A2A80 00004614
	ds_write_b64 v20, v[74:75] offset:19584                    // 000000007150: D89A4C80 00004A14
	ds_write_b64 v20, v[78:79] offset:4352                     // 000000007158: D89A1100 00004E14
	ds_write_b64 v20, v[82:83] offset:13056                    // 000000007160: D89A3300 00005214
	ds_write_b64 v20, v[86:87] offset:21760                    // 000000007168: D89A5500 00005614
	ds_write_b64 v20, v[90:91] offset:6528                     // 000000007170: D89A1980 00005A14
	ds_write_b64 v20, v[94:95] offset:15232                    // 000000007178: D89A3B80 00005E14
	ds_write_b64 v20, v[98:99] offset:23936                    // 000000007180: D89A5D80 00006214
	s_waitcnt lgkmcnt(0)                                       // 000000007188: BF8CC07F
	s_barrier                                                  // 00000000718C: BF8A0000
	ds_read_b32 v54, v21                                       // 000000007190: D86C0000 36000015
	ds_read_b32 v55, v21 offset:64                             // 000000007198: D86C0040 37000015
	ds_read_b32 v58, v21 offset:2176                           // 0000000071A0: D86C0880 3A000015
	ds_read_b32 v59, v21 offset:2240                           // 0000000071A8: D86C08C0 3B000015
	ds_read_b32 v62, v21 offset:4352                           // 0000000071B0: D86C1100 3E000015
	ds_read_b32 v63, v21 offset:4416                           // 0000000071B8: D86C1140 3F000015
	ds_read_b32 v66, v21 offset:6528                           // 0000000071C0: D86C1980 42000015
	ds_read_b32 v67, v21 offset:6592                           // 0000000071C8: D86C19C0 43000015
	ds_read_b32 v70, v21 offset:8704                           // 0000000071D0: D86C2200 46000015
	ds_read_b32 v71, v21 offset:8768                           // 0000000071D8: D86C2240 47000015
	ds_read_b32 v74, v21 offset:10880                          // 0000000071E0: D86C2A80 4A000015
	ds_read_b32 v75, v21 offset:10944                          // 0000000071E8: D86C2AC0 4B000015
	ds_read_b32 v78, v21 offset:13056                          // 0000000071F0: D86C3300 4E000015
	ds_read_b32 v79, v21 offset:13120                          // 0000000071F8: D86C3340 4F000015
	ds_read_b32 v82, v21 offset:15232                          // 000000007200: D86C3B80 52000015
	ds_read_b32 v83, v21 offset:15296                          // 000000007208: D86C3BC0 53000015
	ds_read_b32 v86, v21 offset:17408                          // 000000007210: D86C4400 56000015
	ds_read_b32 v87, v21 offset:17472                          // 000000007218: D86C4440 57000015
	ds_read_b32 v90, v21 offset:19584                          // 000000007220: D86C4C80 5A000015
	ds_read_b32 v91, v21 offset:19648                          // 000000007228: D86C4CC0 5B000015
	ds_read_b32 v94, v21 offset:21760                          // 000000007230: D86C5500 5E000015
	ds_read_b32 v95, v21 offset:21824                          // 000000007238: D86C5540 5F000015
	ds_read_b32 v98, v21 offset:23936                          // 000000007240: D86C5D80 62000015
	ds_read_b32 v99, v21 offset:24000                          // 000000007248: D86C5DC0 63000015
	s_waitcnt lgkmcnt(0)                                       // 000000007250: BF8CC07F
	v_mov_b32_e32 v7, 0                                        // 000000007254: 7E0E0280
	s_mov_b64 exec, s[36:37]                                   // 000000007258: BEFE0124
	v_mov_b32_e32 v6, v42                                      // 00000000725C: 7E0C032A
	s_mov_b64 s[60:61], 0                                      // 000000007260: BEBC0180
	v_readlane_b32 s82, v3, 0                                  // 000000007264: D2890052 00010103
	s_and_b32 s82, s82, 0xffffff                               // 00000000726C: 8652FF52 00FFFFFF
	s_cmp_lt_u32 s82, s66                                      // 000000007274: BF0A4252
	s_cselect_b32 s20, s36, s60                                // 000000007278: 85143C24
	v_readlane_b32 s82, v3, 1                                  // 00000000727C: D2890052 00010303
	s_and_b32 s82, s82, 0xffffff                               // 000000007284: 8652FF52 00FFFFFF
	s_cmp_lt_u32 s82, s66                                      // 00000000728C: BF0A4252
	s_cselect_b32 s21, s36, s60                                // 000000007290: 85153C24
	s_mov_b64 exec, s[20:21]                                   // 000000007294: BEFE0114
	global_atomic_add_f32 v6, v54, s[8:9] offset:8             // 000000007298: DD348008 00083606
	global_atomic_add_f32 v6, v58, s[8:9] offset:264           // 0000000072A0: DD348108 00083A06
	global_atomic_add_f32 v6, v62, s[8:9] offset:520           // 0000000072A8: DD348208 00083E06
	global_atomic_add_f32 v6, v66, s[8:9] offset:776           // 0000000072B0: DD348308 00084206
	s_mov_b64 exec, s[36:37]                                   // 0000000072B8: BEFE0124
	v_mov_b32_e32 v6, v43                                      // 0000000072BC: 7E0C032B
	s_mov_b64 s[60:61], 0                                      // 0000000072C0: BEBC0180
	v_readlane_b32 s82, v3, 2                                  // 0000000072C4: D2890052 00010503
	s_and_b32 s82, s82, 0xffffff                               // 0000000072CC: 8652FF52 00FFFFFF
	s_cmp_lt_u32 s82, s66                                      // 0000000072D4: BF0A4252
	s_cselect_b32 s20, s36, s60                                // 0000000072D8: 85143C24
	v_readlane_b32 s82, v3, 3                                  // 0000000072DC: D2890052 00010703
	s_and_b32 s82, s82, 0xffffff                               // 0000000072E4: 8652FF52 00FFFFFF
	s_cmp_lt_u32 s82, s66                                      // 0000000072EC: BF0A4252
	s_cselect_b32 s21, s36, s60                                // 0000000072F0: 85153C24
	s_mov_b64 exec, s[20:21]                                   // 0000000072F4: BEFE0114
	global_atomic_add_f32 v6, v55, s[8:9] offset:8             // 0000000072F8: DD348008 00083706
	global_atomic_add_f32 v6, v59, s[8:9] offset:264           // 000000007300: DD348108 00083B06
	global_atomic_add_f32 v6, v63, s[8:9] offset:520           // 000000007308: DD348208 00083F06
	global_atomic_add_f32 v6, v67, s[8:9] offset:776           // 000000007310: DD348308 00084306
	s_mov_b64 exec, s[36:37]                                   // 000000007318: BEFE0124
	v_mov_b32_e32 v6, v44                                      // 00000000731C: 7E0C032C
	s_mov_b64 s[60:61], 0                                      // 000000007320: BEBC0180
	v_readlane_b32 s82, v3, 4                                  // 000000007324: D2890052 00010903
	s_and_b32 s82, s82, 0xffffff                               // 00000000732C: 8652FF52 00FFFFFF
	s_cmp_lt_u32 s82, s66                                      // 000000007334: BF0A4252
	s_cselect_b32 s20, s36, s60                                // 000000007338: 85143C24
	v_readlane_b32 s82, v3, 5                                  // 00000000733C: D2890052 00010B03
	s_and_b32 s82, s82, 0xffffff                               // 000000007344: 8652FF52 00FFFFFF
	s_cmp_lt_u32 s82, s66                                      // 00000000734C: BF0A4252
	s_cselect_b32 s21, s36, s60                                // 000000007350: 85153C24
	s_mov_b64 exec, s[20:21]                                   // 000000007354: BEFE0114
	global_atomic_add_f32 v6, v70, s[8:9] offset:8             // 000000007358: DD348008 00084606
	global_atomic_add_f32 v6, v74, s[8:9] offset:264           // 000000007360: DD348108 00084A06
	global_atomic_add_f32 v6, v78, s[8:9] offset:520           // 000000007368: DD348208 00084E06
	global_atomic_add_f32 v6, v82, s[8:9] offset:776           // 000000007370: DD348308 00085206
	s_mov_b64 exec, s[36:37]                                   // 000000007378: BEFE0124
	v_mov_b32_e32 v6, v45                                      // 00000000737C: 7E0C032D
	s_mov_b64 s[60:61], 0                                      // 000000007380: BEBC0180
	v_readlane_b32 s82, v3, 6                                  // 000000007384: D2890052 00010D03
	s_and_b32 s82, s82, 0xffffff                               // 00000000738C: 8652FF52 00FFFFFF
	s_cmp_lt_u32 s82, s66                                      // 000000007394: BF0A4252
	s_cselect_b32 s20, s36, s60                                // 000000007398: 85143C24
	v_readlane_b32 s82, v3, 7                                  // 00000000739C: D2890052 00010F03
	s_and_b32 s82, s82, 0xffffff                               // 0000000073A4: 8652FF52 00FFFFFF
	s_cmp_lt_u32 s82, s66                                      // 0000000073AC: BF0A4252
	s_cselect_b32 s21, s36, s60                                // 0000000073B0: 85153C24
	s_mov_b64 exec, s[20:21]                                   // 0000000073B4: BEFE0114
	global_atomic_add_f32 v6, v71, s[8:9] offset:8             // 0000000073B8: DD348008 00084706
	global_atomic_add_f32 v6, v75, s[8:9] offset:264           // 0000000073C0: DD348108 00084B06
	global_atomic_add_f32 v6, v79, s[8:9] offset:520           // 0000000073C8: DD348208 00084F06
	global_atomic_add_f32 v6, v83, s[8:9] offset:776           // 0000000073D0: DD348308 00085306
	s_mov_b64 exec, s[36:37]                                   // 0000000073D8: BEFE0124
	v_mov_b32_e32 v6, v46                                      // 0000000073DC: 7E0C032E
	s_mov_b64 s[60:61], 0                                      // 0000000073E0: BEBC0180
	v_readlane_b32 s82, v3, 8                                  // 0000000073E4: D2890052 00011103
	s_and_b32 s82, s82, 0xffffff                               // 0000000073EC: 8652FF52 00FFFFFF
	s_cmp_lt_u32 s82, s66                                      // 0000000073F4: BF0A4252
	s_cselect_b32 s20, s36, s60                                // 0000000073F8: 85143C24
	v_readlane_b32 s82, v3, 9                                  // 0000000073FC: D2890052 00011303
	s_and_b32 s82, s82, 0xffffff                               // 000000007404: 8652FF52 00FFFFFF
	s_cmp_lt_u32 s82, s66                                      // 00000000740C: BF0A4252
	s_cselect_b32 s21, s36, s60                                // 000000007410: 85153C24
	s_mov_b64 exec, s[20:21]                                   // 000000007414: BEFE0114
	global_atomic_add_f32 v6, v86, s[8:9] offset:8             // 000000007418: DD348008 00085606
	global_atomic_add_f32 v6, v90, s[8:9] offset:264           // 000000007420: DD348108 00085A06
	global_atomic_add_f32 v6, v94, s[8:9] offset:520           // 000000007428: DD348208 00085E06
	global_atomic_add_f32 v6, v98, s[8:9] offset:776           // 000000007430: DD348308 00086206
	s_mov_b64 exec, s[36:37]                                   // 000000007438: BEFE0124
	v_mov_b32_e32 v6, v47                                      // 00000000743C: 7E0C032F
	s_mov_b64 s[60:61], 0                                      // 000000007440: BEBC0180
	v_readlane_b32 s82, v3, 10                                 // 000000007444: D2890052 00011503
	s_and_b32 s82, s82, 0xffffff                               // 00000000744C: 8652FF52 00FFFFFF
	s_cmp_lt_u32 s82, s66                                      // 000000007454: BF0A4252
	s_cselect_b32 s20, s36, s60                                // 000000007458: 85143C24
	v_readlane_b32 s82, v3, 11                                 // 00000000745C: D2890052 00011703
	s_and_b32 s82, s82, 0xffffff                               // 000000007464: 8652FF52 00FFFFFF
	s_cmp_lt_u32 s82, s66                                      // 00000000746C: BF0A4252
	s_cselect_b32 s21, s36, s60                                // 000000007470: 85153C24
	s_mov_b64 exec, s[20:21]                                   // 000000007474: BEFE0114
	global_atomic_add_f32 v6, v87, s[8:9] offset:8             // 000000007478: DD348008 00085706
	global_atomic_add_f32 v6, v91, s[8:9] offset:264           // 000000007480: DD348108 00085B06
	global_atomic_add_f32 v6, v95, s[8:9] offset:520           // 000000007488: DD348208 00085F06
	global_atomic_add_f32 v6, v99, s[8:9] offset:776           // 000000007490: DD348308 00086306
	s_mov_b64 exec, s[36:37]                                   // 000000007498: BEFE0124
	ds_write_b64 v20, v[100:101]                               // 00000000749C: D89A0000 00006414
	ds_write_b64 v20, v[104:105] offset:8704                   // 0000000074A4: D89A2200 00006814
	ds_write_b64 v20, v[108:109] offset:17408                  // 0000000074AC: D89A4400 00006C14
	ds_write_b64 v20, v[112:113] offset:2176                   // 0000000074B4: D89A0880 00007014
	ds_write_b64 v20, v[116:117] offset:10880                  // 0000000074BC: D89A2A80 00007414
	ds_write_b64 v20, v[120:121] offset:19584                  // 0000000074C4: D89A4C80 00007814
	ds_write_b64 v20, v[124:125] offset:4352                   // 0000000074CC: D89A1100 00007C14
	ds_write_b64 v20, v[128:129] offset:13056                  // 0000000074D4: D89A3300 00008014
	ds_write_b64 v20, v[132:133] offset:21760                  // 0000000074DC: D89A5500 00008414
	ds_write_b64 v20, v[136:137] offset:6528                   // 0000000074E4: D89A1980 00008814
	ds_write_b64 v20, v[140:141] offset:15232                  // 0000000074EC: D89A3B80 00008C14
	ds_write_b64 v20, v[144:145] offset:23936                  // 0000000074F4: D89A5D80 00009014
	s_waitcnt lgkmcnt(0)                                       // 0000000074FC: BF8CC07F
	s_barrier                                                  // 000000007500: BF8A0000
	ds_read_b32 v100, v21                                      // 000000007504: D86C0000 64000015
	ds_read_b32 v101, v21 offset:64                            // 00000000750C: D86C0040 65000015
	ds_read_b32 v104, v21 offset:2176                          // 000000007514: D86C0880 68000015
	ds_read_b32 v105, v21 offset:2240                          // 00000000751C: D86C08C0 69000015
	ds_read_b32 v108, v21 offset:4352                          // 000000007524: D86C1100 6C000015
	ds_read_b32 v109, v21 offset:4416                          // 00000000752C: D86C1140 6D000015
	ds_read_b32 v112, v21 offset:6528                          // 000000007534: D86C1980 70000015
	ds_read_b32 v113, v21 offset:6592                          // 00000000753C: D86C19C0 71000015
	ds_read_b32 v116, v21 offset:8704                          // 000000007544: D86C2200 74000015
	ds_read_b32 v117, v21 offset:8768                          // 00000000754C: D86C2240 75000015
	ds_read_b32 v120, v21 offset:10880                         // 000000007554: D86C2A80 78000015
	ds_read_b32 v121, v21 offset:10944                         // 00000000755C: D86C2AC0 79000015
	ds_read_b32 v124, v21 offset:13056                         // 000000007564: D86C3300 7C000015
	ds_read_b32 v125, v21 offset:13120                         // 00000000756C: D86C3340 7D000015
	ds_read_b32 v128, v21 offset:15232                         // 000000007574: D86C3B80 80000015
	ds_read_b32 v129, v21 offset:15296                         // 00000000757C: D86C3BC0 81000015
	ds_read_b32 v132, v21 offset:17408                         // 000000007584: D86C4400 84000015
	ds_read_b32 v133, v21 offset:17472                         // 00000000758C: D86C4440 85000015
	ds_read_b32 v136, v21 offset:19584                         // 000000007594: D86C4C80 88000015
	ds_read_b32 v137, v21 offset:19648                         // 00000000759C: D86C4CC0 89000015
	ds_read_b32 v140, v21 offset:21760                         // 0000000075A4: D86C5500 8C000015
	ds_read_b32 v141, v21 offset:21824                         // 0000000075AC: D86C5540 8D000015
	ds_read_b32 v144, v21 offset:23936                         // 0000000075B4: D86C5D80 90000015
	ds_read_b32 v145, v21 offset:24000                         // 0000000075BC: D86C5DC0 91000015
	s_mul_i32 s60, s65, 4                                      // 0000000075C4: 923C8441
	s_add_u32 s8, s60, s8                                      // 0000000075C8: 8008083C
	s_addc_u32 s9, 0, s9                                       // 0000000075CC: 82090980
	s_waitcnt lgkmcnt(0)                                       // 0000000075D0: BF8CC07F
	v_mov_b32_e32 v7, 0                                        // 0000000075D4: 7E0E0280
	s_mov_b64 exec, s[36:37]                                   // 0000000075D8: BEFE0124
	v_mov_b32_e32 v6, v42                                      // 0000000075DC: 7E0C032A
	s_mov_b64 s[60:61], 0                                      // 0000000075E0: BEBC0180
	v_readlane_b32 s82, v3, 0                                  // 0000000075E4: D2890052 00010103
	s_and_b32 s82, s82, 0xffffff                               // 0000000075EC: 8652FF52 00FFFFFF
	s_cmp_lt_u32 s82, s66                                      // 0000000075F4: BF0A4252
	s_cselect_b32 s20, s36, s60                                // 0000000075F8: 85143C24
	v_readlane_b32 s82, v3, 1                                  // 0000000075FC: D2890052 00010303
	s_and_b32 s82, s82, 0xffffff                               // 000000007604: 8652FF52 00FFFFFF
	s_cmp_lt_u32 s82, s66                                      // 00000000760C: BF0A4252
	s_cselect_b32 s21, s36, s60                                // 000000007610: 85153C24
	s_mov_b64 exec, s[20:21]                                   // 000000007614: BEFE0114
	global_atomic_add_f32 v6, v100, s[8:9]                     // 000000007618: DD348000 00086406
	global_atomic_add_f32 v6, v104, s[8:9] offset:256          // 000000007620: DD348100 00086806
	global_atomic_add_f32 v6, v108, s[8:9] offset:512          // 000000007628: DD348200 00086C06
	global_atomic_add_f32 v6, v112, s[8:9] offset:768          // 000000007630: DD348300 00087006
	s_mov_b64 exec, s[36:37]                                   // 000000007638: BEFE0124
	v_mov_b32_e32 v6, v43                                      // 00000000763C: 7E0C032B
	s_mov_b64 s[60:61], 0                                      // 000000007640: BEBC0180
	v_readlane_b32 s82, v3, 2                                  // 000000007644: D2890052 00010503
	s_and_b32 s82, s82, 0xffffff                               // 00000000764C: 8652FF52 00FFFFFF
	s_cmp_lt_u32 s82, s66                                      // 000000007654: BF0A4252
	s_cselect_b32 s20, s36, s60                                // 000000007658: 85143C24
	v_readlane_b32 s82, v3, 3                                  // 00000000765C: D2890052 00010703
	s_and_b32 s82, s82, 0xffffff                               // 000000007664: 8652FF52 00FFFFFF
	s_cmp_lt_u32 s82, s66                                      // 00000000766C: BF0A4252
	s_cselect_b32 s21, s36, s60                                // 000000007670: 85153C24
	s_mov_b64 exec, s[20:21]                                   // 000000007674: BEFE0114
	global_atomic_add_f32 v6, v101, s[8:9]                     // 000000007678: DD348000 00086506
	global_atomic_add_f32 v6, v105, s[8:9] offset:256          // 000000007680: DD348100 00086906
	global_atomic_add_f32 v6, v109, s[8:9] offset:512          // 000000007688: DD348200 00086D06
	global_atomic_add_f32 v6, v113, s[8:9] offset:768          // 000000007690: DD348300 00087106
	s_mov_b64 exec, s[36:37]                                   // 000000007698: BEFE0124
	v_mov_b32_e32 v6, v44                                      // 00000000769C: 7E0C032C
	s_mov_b64 s[60:61], 0                                      // 0000000076A0: BEBC0180
	v_readlane_b32 s82, v3, 4                                  // 0000000076A4: D2890052 00010903
	s_and_b32 s82, s82, 0xffffff                               // 0000000076AC: 8652FF52 00FFFFFF
	s_cmp_lt_u32 s82, s66                                      // 0000000076B4: BF0A4252
	s_cselect_b32 s20, s36, s60                                // 0000000076B8: 85143C24
	v_readlane_b32 s82, v3, 5                                  // 0000000076BC: D2890052 00010B03
	s_and_b32 s82, s82, 0xffffff                               // 0000000076C4: 8652FF52 00FFFFFF
	s_cmp_lt_u32 s82, s66                                      // 0000000076CC: BF0A4252
	s_cselect_b32 s21, s36, s60                                // 0000000076D0: 85153C24
	s_mov_b64 exec, s[20:21]                                   // 0000000076D4: BEFE0114
	global_atomic_add_f32 v6, v116, s[8:9]                     // 0000000076D8: DD348000 00087406
	global_atomic_add_f32 v6, v120, s[8:9] offset:256          // 0000000076E0: DD348100 00087806
	global_atomic_add_f32 v6, v124, s[8:9] offset:512          // 0000000076E8: DD348200 00087C06
	global_atomic_add_f32 v6, v128, s[8:9] offset:768          // 0000000076F0: DD348300 00088006
	s_mov_b64 exec, s[36:37]                                   // 0000000076F8: BEFE0124
	v_mov_b32_e32 v6, v45                                      // 0000000076FC: 7E0C032D
	s_mov_b64 s[60:61], 0                                      // 000000007700: BEBC0180
	v_readlane_b32 s82, v3, 6                                  // 000000007704: D2890052 00010D03
	s_and_b32 s82, s82, 0xffffff                               // 00000000770C: 8652FF52 00FFFFFF
	s_cmp_lt_u32 s82, s66                                      // 000000007714: BF0A4252
	s_cselect_b32 s20, s36, s60                                // 000000007718: 85143C24
	v_readlane_b32 s82, v3, 7                                  // 00000000771C: D2890052 00010F03
	s_and_b32 s82, s82, 0xffffff                               // 000000007724: 8652FF52 00FFFFFF
	s_cmp_lt_u32 s82, s66                                      // 00000000772C: BF0A4252
	s_cselect_b32 s21, s36, s60                                // 000000007730: 85153C24
	s_mov_b64 exec, s[20:21]                                   // 000000007734: BEFE0114
	global_atomic_add_f32 v6, v117, s[8:9]                     // 000000007738: DD348000 00087506
	global_atomic_add_f32 v6, v121, s[8:9] offset:256          // 000000007740: DD348100 00087906
	global_atomic_add_f32 v6, v125, s[8:9] offset:512          // 000000007748: DD348200 00087D06
	global_atomic_add_f32 v6, v129, s[8:9] offset:768          // 000000007750: DD348300 00088106
	s_mov_b64 exec, s[36:37]                                   // 000000007758: BEFE0124
	v_mov_b32_e32 v6, v46                                      // 00000000775C: 7E0C032E
	s_mov_b64 s[60:61], 0                                      // 000000007760: BEBC0180
	v_readlane_b32 s82, v3, 8                                  // 000000007764: D2890052 00011103
	s_and_b32 s82, s82, 0xffffff                               // 00000000776C: 8652FF52 00FFFFFF
	s_cmp_lt_u32 s82, s66                                      // 000000007774: BF0A4252
	s_cselect_b32 s20, s36, s60                                // 000000007778: 85143C24
	v_readlane_b32 s82, v3, 9                                  // 00000000777C: D2890052 00011303
	s_and_b32 s82, s82, 0xffffff                               // 000000007784: 8652FF52 00FFFFFF
	s_cmp_lt_u32 s82, s66                                      // 00000000778C: BF0A4252
	s_cselect_b32 s21, s36, s60                                // 000000007790: 85153C24
	s_mov_b64 exec, s[20:21]                                   // 000000007794: BEFE0114
	global_atomic_add_f32 v6, v132, s[8:9]                     // 000000007798: DD348000 00088406
	global_atomic_add_f32 v6, v136, s[8:9] offset:256          // 0000000077A0: DD348100 00088806
	global_atomic_add_f32 v6, v140, s[8:9] offset:512          // 0000000077A8: DD348200 00088C06
	global_atomic_add_f32 v6, v144, s[8:9] offset:768          // 0000000077B0: DD348300 00089006
	s_mov_b64 exec, s[36:37]                                   // 0000000077B8: BEFE0124
	v_mov_b32_e32 v6, v47                                      // 0000000077BC: 7E0C032F
	s_mov_b64 s[60:61], 0                                      // 0000000077C0: BEBC0180
	v_readlane_b32 s82, v3, 10                                 // 0000000077C4: D2890052 00011503
	s_and_b32 s82, s82, 0xffffff                               // 0000000077CC: 8652FF52 00FFFFFF
	s_cmp_lt_u32 s82, s66                                      // 0000000077D4: BF0A4252
	s_cselect_b32 s20, s36, s60                                // 0000000077D8: 85143C24
	v_readlane_b32 s82, v3, 11                                 // 0000000077DC: D2890052 00011703
	s_and_b32 s82, s82, 0xffffff                               // 0000000077E4: 8652FF52 00FFFFFF
	s_cmp_lt_u32 s82, s66                                      // 0000000077EC: BF0A4252
	s_cselect_b32 s21, s36, s60                                // 0000000077F0: 85153C24
	s_mov_b64 exec, s[20:21]                                   // 0000000077F4: BEFE0114
	global_atomic_add_f32 v6, v133, s[8:9]                     // 0000000077F8: DD348000 00088506
	global_atomic_add_f32 v6, v137, s[8:9] offset:256          // 000000007800: DD348100 00088906
	global_atomic_add_f32 v6, v141, s[8:9] offset:512          // 000000007808: DD348200 00088D06
	global_atomic_add_f32 v6, v145, s[8:9] offset:768          // 000000007810: DD348300 00089106
	s_mov_b64 exec, s[36:37]                                   // 000000007818: BEFE0124
	ds_write_b64 v20, v[102:103]                               // 00000000781C: D89A0000 00006614
	ds_write_b64 v20, v[106:107] offset:8704                   // 000000007824: D89A2200 00006A14
	ds_write_b64 v20, v[110:111] offset:17408                  // 00000000782C: D89A4400 00006E14
	ds_write_b64 v20, v[114:115] offset:2176                   // 000000007834: D89A0880 00007214
	ds_write_b64 v20, v[118:119] offset:10880                  // 00000000783C: D89A2A80 00007614
	ds_write_b64 v20, v[122:123] offset:19584                  // 000000007844: D89A4C80 00007A14
	ds_write_b64 v20, v[126:127] offset:4352                   // 00000000784C: D89A1100 00007E14
	ds_write_b64 v20, v[130:131] offset:13056                  // 000000007854: D89A3300 00008214
	ds_write_b64 v20, v[134:135] offset:21760                  // 00000000785C: D89A5500 00008614
	ds_write_b64 v20, v[138:139] offset:6528                   // 000000007864: D89A1980 00008A14
	ds_write_b64 v20, v[142:143] offset:15232                  // 00000000786C: D89A3B80 00008E14
	ds_write_b64 v20, v[146:147] offset:23936                  // 000000007874: D89A5D80 00009214
	s_waitcnt lgkmcnt(0)                                       // 00000000787C: BF8CC07F
	s_barrier                                                  // 000000007880: BF8A0000
	ds_read_b32 v102, v21                                      // 000000007884: D86C0000 66000015
	ds_read_b32 v103, v21 offset:64                            // 00000000788C: D86C0040 67000015
	ds_read_b32 v106, v21 offset:2176                          // 000000007894: D86C0880 6A000015
	ds_read_b32 v107, v21 offset:2240                          // 00000000789C: D86C08C0 6B000015
	ds_read_b32 v110, v21 offset:4352                          // 0000000078A4: D86C1100 6E000015
	ds_read_b32 v111, v21 offset:4416                          // 0000000078AC: D86C1140 6F000015
	ds_read_b32 v114, v21 offset:6528                          // 0000000078B4: D86C1980 72000015
	ds_read_b32 v115, v21 offset:6592                          // 0000000078BC: D86C19C0 73000015
	ds_read_b32 v118, v21 offset:8704                          // 0000000078C4: D86C2200 76000015
	ds_read_b32 v119, v21 offset:8768                          // 0000000078CC: D86C2240 77000015
	ds_read_b32 v122, v21 offset:10880                         // 0000000078D4: D86C2A80 7A000015
	ds_read_b32 v123, v21 offset:10944                         // 0000000078DC: D86C2AC0 7B000015
	ds_read_b32 v126, v21 offset:13056                         // 0000000078E4: D86C3300 7E000015
	ds_read_b32 v127, v21 offset:13120                         // 0000000078EC: D86C3340 7F000015
	ds_read_b32 v130, v21 offset:15232                         // 0000000078F4: D86C3B80 82000015
	ds_read_b32 v131, v21 offset:15296                         // 0000000078FC: D86C3BC0 83000015
	ds_read_b32 v134, v21 offset:17408                         // 000000007904: D86C4400 86000015
	ds_read_b32 v135, v21 offset:17472                         // 00000000790C: D86C4440 87000015
	ds_read_b32 v138, v21 offset:19584                         // 000000007914: D86C4C80 8A000015
	ds_read_b32 v139, v21 offset:19648                         // 00000000791C: D86C4CC0 8B000015
	ds_read_b32 v142, v21 offset:21760                         // 000000007924: D86C5500 8E000015
	ds_read_b32 v143, v21 offset:21824                         // 00000000792C: D86C5540 8F000015
	ds_read_b32 v146, v21 offset:23936                         // 000000007934: D86C5D80 92000015
	ds_read_b32 v147, v21 offset:24000                         // 00000000793C: D86C5DC0 93000015
	s_waitcnt lgkmcnt(0)                                       // 000000007944: BF8CC07F
	v_mov_b32_e32 v7, 0                                        // 000000007948: 7E0E0280
	s_mov_b64 exec, s[36:37]                                   // 00000000794C: BEFE0124
	v_mov_b32_e32 v6, v42                                      // 000000007950: 7E0C032A
	s_mov_b64 s[60:61], 0                                      // 000000007954: BEBC0180
	v_readlane_b32 s82, v3, 0                                  // 000000007958: D2890052 00010103
	s_and_b32 s82, s82, 0xffffff                               // 000000007960: 8652FF52 00FFFFFF
	s_cmp_lt_u32 s82, s66                                      // 000000007968: BF0A4252
	s_cselect_b32 s20, s36, s60                                // 00000000796C: 85143C24
	v_readlane_b32 s82, v3, 1                                  // 000000007970: D2890052 00010303
	s_and_b32 s82, s82, 0xffffff                               // 000000007978: 8652FF52 00FFFFFF
	s_cmp_lt_u32 s82, s66                                      // 000000007980: BF0A4252
	s_cselect_b32 s21, s36, s60                                // 000000007984: 85153C24
	s_mov_b64 exec, s[20:21]                                   // 000000007988: BEFE0114
	global_atomic_add_f32 v6, v102, s[8:9] offset:8            // 00000000798C: DD348008 00086606
	global_atomic_add_f32 v6, v106, s[8:9] offset:264          // 000000007994: DD348108 00086A06
	global_atomic_add_f32 v6, v110, s[8:9] offset:520          // 00000000799C: DD348208 00086E06
	global_atomic_add_f32 v6, v114, s[8:9] offset:776          // 0000000079A4: DD348308 00087206
	s_mov_b64 exec, s[36:37]                                   // 0000000079AC: BEFE0124
	v_mov_b32_e32 v6, v43                                      // 0000000079B0: 7E0C032B
	s_mov_b64 s[60:61], 0                                      // 0000000079B4: BEBC0180
	v_readlane_b32 s82, v3, 2                                  // 0000000079B8: D2890052 00010503
	s_and_b32 s82, s82, 0xffffff                               // 0000000079C0: 8652FF52 00FFFFFF
	s_cmp_lt_u32 s82, s66                                      // 0000000079C8: BF0A4252
	s_cselect_b32 s20, s36, s60                                // 0000000079CC: 85143C24
	v_readlane_b32 s82, v3, 3                                  // 0000000079D0: D2890052 00010703
	s_and_b32 s82, s82, 0xffffff                               // 0000000079D8: 8652FF52 00FFFFFF
	s_cmp_lt_u32 s82, s66                                      // 0000000079E0: BF0A4252
	s_cselect_b32 s21, s36, s60                                // 0000000079E4: 85153C24
	s_mov_b64 exec, s[20:21]                                   // 0000000079E8: BEFE0114
	global_atomic_add_f32 v6, v103, s[8:9] offset:8            // 0000000079EC: DD348008 00086706
	global_atomic_add_f32 v6, v107, s[8:9] offset:264          // 0000000079F4: DD348108 00086B06
	global_atomic_add_f32 v6, v111, s[8:9] offset:520          // 0000000079FC: DD348208 00086F06
	global_atomic_add_f32 v6, v115, s[8:9] offset:776          // 000000007A04: DD348308 00087306
	s_mov_b64 exec, s[36:37]                                   // 000000007A0C: BEFE0124
	v_mov_b32_e32 v6, v44                                      // 000000007A10: 7E0C032C
	s_mov_b64 s[60:61], 0                                      // 000000007A14: BEBC0180
	v_readlane_b32 s82, v3, 4                                  // 000000007A18: D2890052 00010903
	s_and_b32 s82, s82, 0xffffff                               // 000000007A20: 8652FF52 00FFFFFF
	s_cmp_lt_u32 s82, s66                                      // 000000007A28: BF0A4252
	s_cselect_b32 s20, s36, s60                                // 000000007A2C: 85143C24
	v_readlane_b32 s82, v3, 5                                  // 000000007A30: D2890052 00010B03
	s_and_b32 s82, s82, 0xffffff                               // 000000007A38: 8652FF52 00FFFFFF
	s_cmp_lt_u32 s82, s66                                      // 000000007A40: BF0A4252
	s_cselect_b32 s21, s36, s60                                // 000000007A44: 85153C24
	s_mov_b64 exec, s[20:21]                                   // 000000007A48: BEFE0114
	global_atomic_add_f32 v6, v118, s[8:9] offset:8            // 000000007A4C: DD348008 00087606
	global_atomic_add_f32 v6, v122, s[8:9] offset:264          // 000000007A54: DD348108 00087A06
	global_atomic_add_f32 v6, v126, s[8:9] offset:520          // 000000007A5C: DD348208 00087E06
	global_atomic_add_f32 v6, v130, s[8:9] offset:776          // 000000007A64: DD348308 00088206
	s_mov_b64 exec, s[36:37]                                   // 000000007A6C: BEFE0124
	v_mov_b32_e32 v6, v45                                      // 000000007A70: 7E0C032D
	s_mov_b64 s[60:61], 0                                      // 000000007A74: BEBC0180
	v_readlane_b32 s82, v3, 6                                  // 000000007A78: D2890052 00010D03
	s_and_b32 s82, s82, 0xffffff                               // 000000007A80: 8652FF52 00FFFFFF
	s_cmp_lt_u32 s82, s66                                      // 000000007A88: BF0A4252
	s_cselect_b32 s20, s36, s60                                // 000000007A8C: 85143C24
	v_readlane_b32 s82, v3, 7                                  // 000000007A90: D2890052 00010F03
	s_and_b32 s82, s82, 0xffffff                               // 000000007A98: 8652FF52 00FFFFFF
	s_cmp_lt_u32 s82, s66                                      // 000000007AA0: BF0A4252
	s_cselect_b32 s21, s36, s60                                // 000000007AA4: 85153C24
	s_mov_b64 exec, s[20:21]                                   // 000000007AA8: BEFE0114
	global_atomic_add_f32 v6, v119, s[8:9] offset:8            // 000000007AAC: DD348008 00087706
	global_atomic_add_f32 v6, v123, s[8:9] offset:264          // 000000007AB4: DD348108 00087B06
	global_atomic_add_f32 v6, v127, s[8:9] offset:520          // 000000007ABC: DD348208 00087F06
	global_atomic_add_f32 v6, v131, s[8:9] offset:776          // 000000007AC4: DD348308 00088306
	s_mov_b64 exec, s[36:37]                                   // 000000007ACC: BEFE0124
	v_mov_b32_e32 v6, v46                                      // 000000007AD0: 7E0C032E
	s_mov_b64 s[60:61], 0                                      // 000000007AD4: BEBC0180
	v_readlane_b32 s82, v3, 8                                  // 000000007AD8: D2890052 00011103
	s_and_b32 s82, s82, 0xffffff                               // 000000007AE0: 8652FF52 00FFFFFF
	s_cmp_lt_u32 s82, s66                                      // 000000007AE8: BF0A4252
	s_cselect_b32 s20, s36, s60                                // 000000007AEC: 85143C24
	v_readlane_b32 s82, v3, 9                                  // 000000007AF0: D2890052 00011303
	s_and_b32 s82, s82, 0xffffff                               // 000000007AF8: 8652FF52 00FFFFFF
	s_cmp_lt_u32 s82, s66                                      // 000000007B00: BF0A4252
	s_cselect_b32 s21, s36, s60                                // 000000007B04: 85153C24
	s_mov_b64 exec, s[20:21]                                   // 000000007B08: BEFE0114
	global_atomic_add_f32 v6, v134, s[8:9] offset:8            // 000000007B0C: DD348008 00088606
	global_atomic_add_f32 v6, v138, s[8:9] offset:264          // 000000007B14: DD348108 00088A06
	global_atomic_add_f32 v6, v142, s[8:9] offset:520          // 000000007B1C: DD348208 00088E06
	global_atomic_add_f32 v6, v146, s[8:9] offset:776          // 000000007B24: DD348308 00089206
	s_mov_b64 exec, s[36:37]                                   // 000000007B2C: BEFE0124
	v_mov_b32_e32 v6, v47                                      // 000000007B30: 7E0C032F
	s_mov_b64 s[60:61], 0                                      // 000000007B34: BEBC0180
	v_readlane_b32 s82, v3, 10                                 // 000000007B38: D2890052 00011503
	s_and_b32 s82, s82, 0xffffff                               // 000000007B40: 8652FF52 00FFFFFF
	s_cmp_lt_u32 s82, s66                                      // 000000007B48: BF0A4252
	s_cselect_b32 s20, s36, s60                                // 000000007B4C: 85143C24
	v_readlane_b32 s82, v3, 11                                 // 000000007B50: D2890052 00011703
	s_and_b32 s82, s82, 0xffffff                               // 000000007B58: 8652FF52 00FFFFFF
	s_cmp_lt_u32 s82, s66                                      // 000000007B60: BF0A4252
	s_cselect_b32 s21, s36, s60                                // 000000007B64: 85153C24
	s_mov_b64 exec, s[20:21]                                   // 000000007B68: BEFE0114
	global_atomic_add_f32 v6, v135, s[8:9] offset:8            // 000000007B6C: DD348008 00088706
	global_atomic_add_f32 v6, v139, s[8:9] offset:264          // 000000007B74: DD348108 00088B06
	global_atomic_add_f32 v6, v143, s[8:9] offset:520          // 000000007B7C: DD348208 00088F06
	global_atomic_add_f32 v6, v147, s[8:9] offset:776          // 000000007B84: DD348308 00089306
	s_mov_b64 exec, s[36:37]                                   // 000000007B8C: BEFE0124
	s_branch label_266E                                        // 000000007B90: BF821206

0000000000007b94 <label_1468>:
	s_waitcnt vmcnt(14) lgkmcnt(0)                             // 000000007B94: BF8C007E
	v_mfma_f32_16x16x32_fp8_fp8 v[52:55], a[48:49], a[0:1], v[52:55]// 000000007B98: D3F30034 1CD20130
	buffer_load_dwordx4 a[112:115], v48, s[24:27], 0 offen     // 000000007BA0: E05C1000 80867030
	v_mfma_f32_16x16x32_fp8_fp8 v[52:55], a[50:51], a[2:3], v[52:55]// 000000007BA8: D3F30034 1CD20532
	v_mfma_f32_16x16x32_fp8_fp8 v[52:55], a[52:53], a[4:5], v[52:55]// 000000007BB0: D3F30034 1CD20934
	v_mfma_f32_16x16x32_fp8_fp8 v[52:55], a[54:55], a[6:7], v[52:55]// 000000007BB8: D3F30034 1CD20D36
	v_mfma_f32_16x16x32_fp8_fp8 v[64:67], a[56:57], a[0:1], v[64:67]// 000000007BC0: D3F30040 1D020138
	buffer_load_dwordx4 a[116:119], v48, s[24:27], 0 offen offset:1024// 000000007BC8: E05C1400 80867430
	v_mfma_f32_16x16x32_fp8_fp8 v[64:67], a[58:59], a[2:3], v[64:67]// 000000007BD0: D3F30040 1D02053A
	v_mfma_f32_16x16x32_fp8_fp8 v[64:67], a[60:61], a[4:5], v[64:67]// 000000007BD8: D3F30040 1D02093C
	v_mfma_f32_16x16x32_fp8_fp8 v[64:67], a[62:63], a[6:7], v[64:67]// 000000007BE0: D3F30040 1D020D3E
	v_mfma_f32_16x16x32_fp8_fp8 v[76:79], a[64:65], a[0:1], v[76:79]// 000000007BE8: D3F3004C 1D320140
	buffer_load_dwordx4 a[120:123], v49, s[24:27], 0 offen     // 000000007BF0: E05C1000 80867831
	v_mfma_f32_16x16x32_fp8_fp8 v[76:79], a[66:67], a[2:3], v[76:79]// 000000007BF8: D3F3004C 1D320542
	v_mfma_f32_16x16x32_fp8_fp8 v[76:79], a[68:69], a[4:5], v[76:79]// 000000007C00: D3F3004C 1D320944
	v_mfma_f32_16x16x32_fp8_fp8 v[76:79], a[70:71], a[6:7], v[76:79]// 000000007C08: D3F3004C 1D320D46
	v_mfma_f32_16x16x32_fp8_fp8 v[88:91], a[72:73], a[0:1], v[88:91]// 000000007C10: D3F30058 1D620148
	buffer_load_dwordx4 a[124:127], v49, s[24:27], 0 offen offset:1024// 000000007C18: E05C1400 80867C31
	v_mfma_f32_16x16x32_fp8_fp8 v[88:91], a[74:75], a[2:3], v[88:91]// 000000007C20: D3F30058 1D62054A
	v_mfma_f32_16x16x32_fp8_fp8 v[88:91], a[76:77], a[4:5], v[88:91]// 000000007C28: D3F30058 1D62094C
	v_mfma_f32_16x16x32_fp8_fp8 v[88:91], a[78:79], a[6:7], v[88:91]// 000000007C30: D3F30058 1D620D4E
	v_mfma_f32_16x16x32_fp8_fp8 v[56:59], a[48:49], a[8:9], v[56:59]// 000000007C38: D3F30038 1CE21130
	buffer_load_dwordx4 a[128:131], v50, s[24:27], 0 offen     // 000000007C40: E05C1000 80868032
	v_mfma_f32_16x16x32_fp8_fp8 v[56:59], a[50:51], a[10:11], v[56:59]// 000000007C48: D3F30038 1CE21532
	v_mfma_f32_16x16x32_fp8_fp8 v[56:59], a[52:53], a[12:13], v[56:59]// 000000007C50: D3F30038 1CE21934
	v_mfma_f32_16x16x32_fp8_fp8 v[56:59], a[54:55], a[14:15], v[56:59]// 000000007C58: D3F30038 1CE21D36
	v_mfma_f32_16x16x32_fp8_fp8 v[68:71], a[56:57], a[8:9], v[68:71]// 000000007C60: D3F30044 1D121138
	buffer_load_dwordx4 a[132:135], v50, s[24:27], 0 offen offset:1024// 000000007C68: E05C1400 80868432
	v_mfma_f32_16x16x32_fp8_fp8 v[68:71], a[58:59], a[10:11], v[68:71]// 000000007C70: D3F30044 1D12153A
	v_mfma_f32_16x16x32_fp8_fp8 v[68:71], a[60:61], a[12:13], v[68:71]// 000000007C78: D3F30044 1D12193C
	v_mfma_f32_16x16x32_fp8_fp8 v[68:71], a[62:63], a[14:15], v[68:71]// 000000007C80: D3F30044 1D121D3E
	v_mfma_f32_16x16x32_fp8_fp8 v[80:83], a[64:65], a[8:9], v[80:83]// 000000007C88: D3F30050 1D421140
	buffer_load_dwordx4 a[136:139], v51, s[24:27], 0 offen     // 000000007C90: E05C1000 80868833
	v_mfma_f32_16x16x32_fp8_fp8 v[80:83], a[66:67], a[10:11], v[80:83]// 000000007C98: D3F30050 1D421542
	v_mfma_f32_16x16x32_fp8_fp8 v[80:83], a[68:69], a[12:13], v[80:83]// 000000007CA0: D3F30050 1D421944
	v_mfma_f32_16x16x32_fp8_fp8 v[80:83], a[70:71], a[14:15], v[80:83]// 000000007CA8: D3F30050 1D421D46
	v_mfma_f32_16x16x32_fp8_fp8 v[92:95], a[72:73], a[8:9], v[92:95]// 000000007CB0: D3F3005C 1D721148
	buffer_load_dwordx4 a[140:143], v51, s[24:27], 0 offen offset:1024// 000000007CB8: E05C1400 80868C33
	buffer_load_dword v42, s[20:23], 0 offen lds               // 000000007CC0: E0511000 8005002A
	s_add_u32 m0, 0x100, s50                                   // 000000007CC8: 807C32FF 00000100
	v_mfma_f32_16x16x32_fp8_fp8 v[92:95], a[74:75], a[10:11], v[92:95]// 000000007CD0: D3F3005C 1D72154A
	v_mfma_f32_16x16x32_fp8_fp8 v[92:95], a[76:77], a[12:13], v[92:95]// 000000007CD8: D3F3005C 1D72194C
	buffer_load_dword v43, s[20:23], 0 offen lds               // 000000007CE0: E0511000 8005002B
	s_add_u32 m0, 0x200, s50                                   // 000000007CE8: 807C32FF 00000200
	v_mfma_f32_16x16x32_fp8_fp8 v[92:95], a[78:79], a[14:15], v[92:95]// 000000007CF0: D3F3005C 1D721D4E
	v_mfma_f32_16x16x32_fp8_fp8 v[60:63], a[48:49], a[16:17], v[60:63]// 000000007CF8: D3F3003C 1CF22130
	buffer_load_dword v44, s[20:23], 0 offen lds               // 000000007D00: E0511000 8005002C
	s_add_u32 m0, 0x300, s50                                   // 000000007D08: 807C32FF 00000300
	v_mfma_f32_16x16x32_fp8_fp8 v[60:63], a[50:51], a[18:19], v[60:63]// 000000007D10: D3F3003C 1CF22532
	v_mfma_f32_16x16x32_fp8_fp8 v[60:63], a[52:53], a[20:21], v[60:63]// 000000007D18: D3F3003C 1CF22934
	buffer_load_dword v45, s[20:23], 0 offen lds               // 000000007D20: E0511000 8005002D
	s_add_u32 m0, 0x400, s50                                   // 000000007D28: 807C32FF 00000400
	v_mfma_f32_16x16x32_fp8_fp8 v[60:63], a[54:55], a[22:23], v[60:63]// 000000007D30: D3F3003C 1CF22D36
	v_mfma_f32_16x16x32_fp8_fp8 v[72:75], a[56:57], a[16:17], v[72:75]// 000000007D38: D3F30048 1D222138
	buffer_load_dword v46, s[20:23], 0 offen lds               // 000000007D40: E0511000 8005002E
	s_add_u32 m0, 0x500, s50                                   // 000000007D48: 807C32FF 00000500
	v_mfma_f32_16x16x32_fp8_fp8 v[72:75], a[58:59], a[18:19], v[72:75]// 000000007D50: D3F30048 1D22253A
	v_mfma_f32_16x16x32_fp8_fp8 v[72:75], a[60:61], a[20:21], v[72:75]// 000000007D58: D3F30048 1D22293C
	buffer_load_dword v47, s[20:23], 0 offen lds               // 000000007D60: E0511000 8005002F
	s_add_u32 m0, 0, s48                                       // 000000007D68: 807C3080
	v_mfma_f32_16x16x32_fp8_fp8 v[72:75], a[62:63], a[22:23], v[72:75]// 000000007D6C: D3F30048 1D222D3E
	v_mfma_f32_16x16x32_fp8_fp8 v[84:87], a[64:65], a[16:17], v[84:87]// 000000007D74: D3F30054 1D522140
	v_mfma_f32_16x16x32_fp8_fp8 v[84:87], a[66:67], a[18:19], v[84:87]// 000000007D7C: D3F30054 1D522542
	v_mfma_f32_16x16x32_fp8_fp8 v[84:87], a[68:69], a[20:21], v[84:87]// 000000007D84: D3F30054 1D522944
	v_mfma_f32_16x16x32_fp8_fp8 v[84:87], a[70:71], a[22:23], v[84:87]// 000000007D8C: D3F30054 1D522D46
	v_mfma_f32_16x16x32_fp8_fp8 v[96:99], a[72:73], a[16:17], v[96:99]// 000000007D94: D3F30060 1D822148
	v_mfma_f32_16x16x32_fp8_fp8 v[96:99], a[74:75], a[18:19], v[96:99]// 000000007D9C: D3F30060 1D82254A
	v_mfma_f32_16x16x32_fp8_fp8 v[96:99], a[76:77], a[20:21], v[96:99]// 000000007DA4: D3F30060 1D82294C
	v_mfma_f32_16x16x32_fp8_fp8 v[96:99], a[78:79], a[22:23], v[96:99]// 000000007DAC: D3F30060 1D822D4E
	s_waitcnt vmcnt(14)                                        // 000000007DB4: BF8C0F7E
	s_barrier                                                  // 000000007DB8: BF8A0000
	v_mfma_f32_16x16x32_fp8_fp8 v[100:103], a[80:81], a[0:1], v[100:103]// 000000007DBC: D3F30064 1D920150
	buffer_load_dwordx4 a[48:51], v48, s[84:87], 0 offen       // 000000007DC4: E05C1000 80953030
	v_mfma_f32_16x16x32_fp8_fp8 v[100:103], a[82:83], a[2:3], v[100:103]// 000000007DCC: D3F30064 1D920552
	v_mfma_f32_16x16x32_fp8_fp8 v[100:103], a[84:85], a[4:5], v[100:103]// 000000007DD4: D3F30064 1D920954
	ds_read_b128 a[24:27], v2 offset:6272                      // 000000007DDC: DBFE1880 18000002
	ds_read_b128 a[28:31], v2 offset:6336                      // 000000007DE4: DBFE18C0 1C000002
	v_mfma_f32_16x16x32_fp8_fp8 v[100:103], a[86:87], a[6:7], v[100:103]// 000000007DEC: D3F30064 1D920D56
	v_mfma_f32_16x16x32_fp8_fp8 v[112:115], a[88:89], a[0:1], v[112:115]// 000000007DF4: D3F30070 1DC20158
	buffer_load_dwordx4 a[52:55], v48, s[84:87], 0 offen offset:1024// 000000007DFC: E05C1400 80953430
	v_mfma_f32_16x16x32_fp8_fp8 v[112:115], a[90:91], a[2:3], v[112:115]// 000000007E04: D3F30070 1DC2055A
	v_mfma_f32_16x16x32_fp8_fp8 v[112:115], a[92:93], a[4:5], v[112:115]// 000000007E0C: D3F30070 1DC2095C
	ds_read_b128 a[32:35], v2 offset:6784                      // 000000007E14: DBFE1A80 20000002
	ds_read_b128 a[36:39], v2 offset:6848                      // 000000007E1C: DBFE1AC0 24000002
	v_mfma_f32_16x16x32_fp8_fp8 v[112:115], a[94:95], a[6:7], v[112:115]// 000000007E24: D3F30070 1DC20D5E
	v_mfma_f32_16x16x32_fp8_fp8 v[124:127], a[96:97], a[0:1], v[124:127]// 000000007E2C: D3F3007C 1DF20160
	buffer_load_dwordx4 a[56:59], v49, s[84:87], 0 offen       // 000000007E34: E05C1000 80953831
	v_mfma_f32_16x16x32_fp8_fp8 v[124:127], a[98:99], a[2:3], v[124:127]// 000000007E3C: D3F3007C 1DF20562
	v_mfma_f32_16x16x32_fp8_fp8 v[124:127], a[100:101], a[4:5], v[124:127]// 000000007E44: D3F3007C 1DF20964
	ds_read_b128 a[40:43], v2 offset:7296                      // 000000007E4C: DBFE1C80 28000002
	ds_read_b128 a[44:47], v2 offset:7360                      // 000000007E54: DBFE1CC0 2C000002
	v_mfma_f32_16x16x32_fp8_fp8 v[124:127], a[102:103], a[6:7], v[124:127]// 000000007E5C: D3F3007C 1DF20D66
	v_mfma_f32_16x16x32_fp8_fp8 v[136:139], a[104:105], a[0:1], v[136:139]// 000000007E64: D3F30088 1E220168
	buffer_load_dwordx4 a[60:63], v49, s[84:87], 0 offen offset:1024// 000000007E6C: E05C1400 80953C31
	v_mfma_f32_16x16x32_fp8_fp8 v[136:139], a[106:107], a[2:3], v[136:139]// 000000007E74: D3F30088 1E22056A
	v_mfma_f32_16x16x32_fp8_fp8 v[136:139], a[108:109], a[4:5], v[136:139]// 000000007E7C: D3F30088 1E22096C
	v_mfma_f32_16x16x32_fp8_fp8 v[136:139], a[110:111], a[6:7], v[136:139]// 000000007E84: D3F30088 1E220D6E
	v_mfma_f32_16x16x32_fp8_fp8 v[104:107], a[80:81], a[8:9], v[104:107]// 000000007E8C: D3F30068 1DA21150
	buffer_load_dwordx4 a[64:67], v50, s[84:87], 0 offen       // 000000007E94: E05C1000 80954032
	v_mfma_f32_16x16x32_fp8_fp8 v[104:107], a[82:83], a[10:11], v[104:107]// 000000007E9C: D3F30068 1DA21552
	v_mfma_f32_16x16x32_fp8_fp8 v[104:107], a[84:85], a[12:13], v[104:107]// 000000007EA4: D3F30068 1DA21954
	v_mfma_f32_16x16x32_fp8_fp8 v[104:107], a[86:87], a[14:15], v[104:107]// 000000007EAC: D3F30068 1DA21D56
	v_mfma_f32_16x16x32_fp8_fp8 v[116:119], a[88:89], a[8:9], v[116:119]// 000000007EB4: D3F30074 1DD21158
	buffer_load_dwordx4 a[68:71], v50, s[84:87], 0 offen offset:1024// 000000007EBC: E05C1400 80954432
	v_mfma_f32_16x16x32_fp8_fp8 v[116:119], a[90:91], a[10:11], v[116:119]// 000000007EC4: D3F30074 1DD2155A
	v_mfma_f32_16x16x32_fp8_fp8 v[116:119], a[92:93], a[12:13], v[116:119]// 000000007ECC: D3F30074 1DD2195C
	v_mfma_f32_16x16x32_fp8_fp8 v[116:119], a[94:95], a[14:15], v[116:119]// 000000007ED4: D3F30074 1DD21D5E
	v_mfma_f32_16x16x32_fp8_fp8 v[128:131], a[96:97], a[8:9], v[128:131]// 000000007EDC: D3F30080 1E021160
	buffer_load_dwordx4 a[72:75], v51, s[84:87], 0 offen       // 000000007EE4: E05C1000 80954833
	v_mfma_f32_16x16x32_fp8_fp8 v[128:131], a[98:99], a[10:11], v[128:131]// 000000007EEC: D3F30080 1E021562
	v_mfma_f32_16x16x32_fp8_fp8 v[128:131], a[100:101], a[12:13], v[128:131]// 000000007EF4: D3F30080 1E021964
	v_mfma_f32_16x16x32_fp8_fp8 v[128:131], a[102:103], a[14:15], v[128:131]// 000000007EFC: D3F30080 1E021D66
	v_mfma_f32_16x16x32_fp8_fp8 v[140:143], a[104:105], a[8:9], v[140:143]// 000000007F04: D3F3008C 1E321168
	buffer_load_dwordx4 a[76:79], v51, s[84:87], 0 offen offset:1024// 000000007F0C: E05C1400 80954C33
	v_mfma_f32_16x16x32_fp8_fp8 v[140:143], a[106:107], a[10:11], v[140:143]// 000000007F14: D3F3008C 1E32156A
	v_mfma_f32_16x16x32_fp8_fp8 v[140:143], a[108:109], a[12:13], v[140:143]// 000000007F1C: D3F3008C 1E32196C
	v_mfma_f32_16x16x32_fp8_fp8 v[140:143], a[110:111], a[14:15], v[140:143]// 000000007F24: D3F3008C 1E321D6E
	v_mfma_f32_16x16x32_fp8_fp8 v[108:111], a[80:81], a[16:17], v[108:111]// 000000007F2C: D3F3006C 1DB22150
	v_mfma_f32_16x16x32_fp8_fp8 v[108:111], a[82:83], a[18:19], v[108:111]// 000000007F34: D3F3006C 1DB22552
	v_mfma_f32_16x16x32_fp8_fp8 v[108:111], a[84:85], a[20:21], v[108:111]// 000000007F3C: D3F3006C 1DB22954
	v_mfma_f32_16x16x32_fp8_fp8 v[108:111], a[86:87], a[22:23], v[108:111]// 000000007F44: D3F3006C 1DB22D56
	v_mfma_f32_16x16x32_fp8_fp8 v[120:123], a[88:89], a[16:17], v[120:123]// 000000007F4C: D3F30078 1DE22158
	v_mfma_f32_16x16x32_fp8_fp8 v[120:123], a[90:91], a[18:19], v[120:123]// 000000007F54: D3F30078 1DE2255A
	v_mfma_f32_16x16x32_fp8_fp8 v[120:123], a[92:93], a[20:21], v[120:123]// 000000007F5C: D3F30078 1DE2295C
	v_mfma_f32_16x16x32_fp8_fp8 v[120:123], a[94:95], a[22:23], v[120:123]// 000000007F64: D3F30078 1DE22D5E
	v_mfma_f32_16x16x32_fp8_fp8 v[132:135], a[96:97], a[16:17], v[132:135]// 000000007F6C: D3F30084 1E122160
	s_add_u32 s60, 0x180, s80                                  // 000000007F74: 803C50FF 00000180
	s_cmp_lt_u32 s60, s81                                      // 000000007F7C: BF0A513C
	s_cselect_b32 s57, s57, 0                                  // 000000007F80: 85398039
	v_mfma_f32_16x16x32_fp8_fp8 v[132:135], a[98:99], a[18:19], v[132:135]// 000000007F84: D3F30084 1E122562
	s_add_u32 s60, 0x100, s80                                  // 000000007F8C: 803C50FF 00000100
	s_cmp_lt_u32 s60, s81                                      // 000000007F94: BF0A513C
	s_cselect_b32 s58, s58, 0                                  // 000000007F98: 853A803A
	v_mfma_f32_16x16x32_fp8_fp8 v[132:135], a[100:101], a[20:21], v[132:135]// 000000007F9C: D3F30084 1E122964
	s_add_u32 s60, 0x100, s80                                  // 000000007FA4: 803C50FF 00000100
	s_cmp_lt_u32 s60, s81                                      // 000000007FAC: BF0A513C
	s_cselect_b32 s83, s83, 0                                  // 000000007FB0: 85538053
	v_mfma_f32_16x16x32_fp8_fp8 v[132:135], a[102:103], a[22:23], v[132:135]// 000000007FB4: D3F30084 1E122D66
	s_add_u32 s24, s58, s24                                    // 000000007FBC: 8018183A
	s_addc_u32 s25, 0, s25                                     // 000000007FC0: 82191980
	v_mfma_f32_16x16x32_fp8_fp8 v[144:147], a[104:105], a[16:17], v[144:147]// 000000007FC4: D3F30090 1E422168
	s_add_u32 s20, s57, s20                                    // 000000007FCC: 80141439
	s_addc_u32 s21, 0, s21                                     // 000000007FD0: 82151580
	v_mfma_f32_16x16x32_fp8_fp8 v[144:147], a[106:107], a[18:19], v[144:147]// 000000007FD4: D3F30090 1E42256A
	s_add_u32 s84, s83, s84                                    // 000000007FDC: 80545453
	s_addc_u32 s85, 0, s85                                     // 000000007FE0: 82555580
	v_mfma_f32_16x16x32_fp8_fp8 v[144:147], a[108:109], a[20:21], v[144:147]// 000000007FE4: D3F30090 1E42296C
	v_mfma_f32_16x16x32_fp8_fp8 v[144:147], a[110:111], a[22:23], v[144:147]// 000000007FEC: D3F30090 1E422D6E
	s_addk_i32 s80, 0x80                                       // 000000007FF4: B7500080
	s_cmp_lt_i32 s80, s81                                      // 000000007FF8: BF045150
	s_cbranch_scc0 label_1B0B                                  // 000000007FFC: BF840588
	s_waitcnt vmcnt(14) lgkmcnt(0)                             // 000000008000: BF8C007E
	v_mfma_f32_16x16x32_fp8_fp8 v[52:55], a[112:113], a[24:25], v[52:55]// 000000008004: D3F30034 1CD23170
	buffer_load_dwordx4 a[80:83], v48, s[24:27], 0 offen       // 00000000800C: E05C1000 80865030
	v_mfma_f32_16x16x32_fp8_fp8 v[52:55], a[114:115], a[26:27], v[52:55]// 000000008014: D3F30034 1CD23572
	v_mfma_f32_16x16x32_fp8_fp8 v[52:55], a[116:117], a[28:29], v[52:55]// 00000000801C: D3F30034 1CD23974
	v_mfma_f32_16x16x32_fp8_fp8 v[52:55], a[118:119], a[30:31], v[52:55]// 000000008024: D3F30034 1CD23D76
	v_mfma_f32_16x16x32_fp8_fp8 v[64:67], a[120:121], a[24:25], v[64:67]// 00000000802C: D3F30040 1D023178
	buffer_load_dwordx4 a[84:87], v48, s[24:27], 0 offen offset:1024// 000000008034: E05C1400 80865430
	v_mfma_f32_16x16x32_fp8_fp8 v[64:67], a[122:123], a[26:27], v[64:67]// 00000000803C: D3F30040 1D02357A
	v_mfma_f32_16x16x32_fp8_fp8 v[64:67], a[124:125], a[28:29], v[64:67]// 000000008044: D3F30040 1D02397C
	v_mfma_f32_16x16x32_fp8_fp8 v[64:67], a[126:127], a[30:31], v[64:67]// 00000000804C: D3F30040 1D023D7E
	v_mfma_f32_16x16x32_fp8_fp8 v[76:79], a[128:129], a[24:25], v[76:79]// 000000008054: D3F3004C 1D323180
	buffer_load_dwordx4 a[88:91], v49, s[24:27], 0 offen       // 00000000805C: E05C1000 80865831
	v_mfma_f32_16x16x32_fp8_fp8 v[76:79], a[130:131], a[26:27], v[76:79]// 000000008064: D3F3004C 1D323582
	v_mfma_f32_16x16x32_fp8_fp8 v[76:79], a[132:133], a[28:29], v[76:79]// 00000000806C: D3F3004C 1D323984
	v_mfma_f32_16x16x32_fp8_fp8 v[76:79], a[134:135], a[30:31], v[76:79]// 000000008074: D3F3004C 1D323D86
	v_mfma_f32_16x16x32_fp8_fp8 v[88:91], a[136:137], a[24:25], v[88:91]// 00000000807C: D3F30058 1D623188
	buffer_load_dwordx4 a[92:95], v49, s[24:27], 0 offen offset:1024// 000000008084: E05C1400 80865C31
	v_mfma_f32_16x16x32_fp8_fp8 v[88:91], a[138:139], a[26:27], v[88:91]// 00000000808C: D3F30058 1D62358A
	v_mfma_f32_16x16x32_fp8_fp8 v[88:91], a[140:141], a[28:29], v[88:91]// 000000008094: D3F30058 1D62398C
	v_mfma_f32_16x16x32_fp8_fp8 v[88:91], a[142:143], a[30:31], v[88:91]// 00000000809C: D3F30058 1D623D8E
	v_mfma_f32_16x16x32_fp8_fp8 v[56:59], a[112:113], a[32:33], v[56:59]// 0000000080A4: D3F30038 1CE24170
	buffer_load_dwordx4 a[96:99], v50, s[24:27], 0 offen       // 0000000080AC: E05C1000 80866032
	v_mfma_f32_16x16x32_fp8_fp8 v[56:59], a[114:115], a[34:35], v[56:59]// 0000000080B4: D3F30038 1CE24572
	v_mfma_f32_16x16x32_fp8_fp8 v[56:59], a[116:117], a[36:37], v[56:59]// 0000000080BC: D3F30038 1CE24974
	v_mfma_f32_16x16x32_fp8_fp8 v[56:59], a[118:119], a[38:39], v[56:59]// 0000000080C4: D3F30038 1CE24D76
	v_mfma_f32_16x16x32_fp8_fp8 v[68:71], a[120:121], a[32:33], v[68:71]// 0000000080CC: D3F30044 1D124178
	buffer_load_dwordx4 a[100:103], v50, s[24:27], 0 offen offset:1024// 0000000080D4: E05C1400 80866432
	v_mfma_f32_16x16x32_fp8_fp8 v[68:71], a[122:123], a[34:35], v[68:71]// 0000000080DC: D3F30044 1D12457A
	v_mfma_f32_16x16x32_fp8_fp8 v[68:71], a[124:125], a[36:37], v[68:71]// 0000000080E4: D3F30044 1D12497C
	v_mfma_f32_16x16x32_fp8_fp8 v[68:71], a[126:127], a[38:39], v[68:71]// 0000000080EC: D3F30044 1D124D7E
	v_mfma_f32_16x16x32_fp8_fp8 v[80:83], a[128:129], a[32:33], v[80:83]// 0000000080F4: D3F30050 1D424180
	buffer_load_dwordx4 a[104:107], v51, s[24:27], 0 offen     // 0000000080FC: E05C1000 80866833
	v_mfma_f32_16x16x32_fp8_fp8 v[80:83], a[130:131], a[34:35], v[80:83]// 000000008104: D3F30050 1D424582
	v_mfma_f32_16x16x32_fp8_fp8 v[80:83], a[132:133], a[36:37], v[80:83]// 00000000810C: D3F30050 1D424984
	v_mfma_f32_16x16x32_fp8_fp8 v[80:83], a[134:135], a[38:39], v[80:83]// 000000008114: D3F30050 1D424D86
	v_mfma_f32_16x16x32_fp8_fp8 v[92:95], a[136:137], a[32:33], v[92:95]// 00000000811C: D3F3005C 1D724188
	buffer_load_dwordx4 a[108:111], v51, s[24:27], 0 offen offset:1024// 000000008124: E05C1400 80866C33
	buffer_load_dword v42, s[20:23], 0 offen lds               // 00000000812C: E0511000 8005002A
	s_add_u32 m0, 0x100, s48                                   // 000000008134: 807C30FF 00000100
	v_mfma_f32_16x16x32_fp8_fp8 v[92:95], a[138:139], a[34:35], v[92:95]// 00000000813C: D3F3005C 1D72458A
	v_mfma_f32_16x16x32_fp8_fp8 v[92:95], a[140:141], a[36:37], v[92:95]// 000000008144: D3F3005C 1D72498C
	buffer_load_dword v43, s[20:23], 0 offen lds               // 00000000814C: E0511000 8005002B
	s_add_u32 m0, 0x200, s48                                   // 000000008154: 807C30FF 00000200
	v_mfma_f32_16x16x32_fp8_fp8 v[92:95], a[142:143], a[38:39], v[92:95]// 00000000815C: D3F3005C 1D724D8E
	v_mfma_f32_16x16x32_fp8_fp8 v[60:63], a[112:113], a[40:41], v[60:63]// 000000008164: D3F3003C 1CF25170
	buffer_load_dword v44, s[20:23], 0 offen lds               // 00000000816C: E0511000 8005002C
	s_add_u32 m0, 0x300, s48                                   // 000000008174: 807C30FF 00000300
	v_mfma_f32_16x16x32_fp8_fp8 v[60:63], a[114:115], a[42:43], v[60:63]// 00000000817C: D3F3003C 1CF25572
	v_mfma_f32_16x16x32_fp8_fp8 v[60:63], a[116:117], a[44:45], v[60:63]// 000000008184: D3F3003C 1CF25974
	buffer_load_dword v45, s[20:23], 0 offen lds               // 00000000818C: E0511000 8005002D
	s_add_u32 m0, 0x400, s48                                   // 000000008194: 807C30FF 00000400
	v_mfma_f32_16x16x32_fp8_fp8 v[60:63], a[118:119], a[46:47], v[60:63]// 00000000819C: D3F3003C 1CF25D76
	v_mfma_f32_16x16x32_fp8_fp8 v[72:75], a[120:121], a[40:41], v[72:75]// 0000000081A4: D3F30048 1D225178
	buffer_load_dword v46, s[20:23], 0 offen lds               // 0000000081AC: E0511000 8005002E
	s_add_u32 m0, 0x500, s48                                   // 0000000081B4: 807C30FF 00000500
	v_mfma_f32_16x16x32_fp8_fp8 v[72:75], a[122:123], a[42:43], v[72:75]// 0000000081BC: D3F30048 1D22557A
	v_mfma_f32_16x16x32_fp8_fp8 v[72:75], a[124:125], a[44:45], v[72:75]// 0000000081C4: D3F30048 1D22597C
	buffer_load_dword v47, s[20:23], 0 offen lds               // 0000000081CC: E0511000 8005002F
	s_add_u32 m0, 0, s49                                       // 0000000081D4: 807C3180
	v_mfma_f32_16x16x32_fp8_fp8 v[72:75], a[126:127], a[46:47], v[72:75]// 0000000081D8: D3F30048 1D225D7E
	v_mfma_f32_16x16x32_fp8_fp8 v[84:87], a[128:129], a[40:41], v[84:87]// 0000000081E0: D3F30054 1D525180
	v_mfma_f32_16x16x32_fp8_fp8 v[84:87], a[130:131], a[42:43], v[84:87]// 0000000081E8: D3F30054 1D525582
	v_mfma_f32_16x16x32_fp8_fp8 v[84:87], a[132:133], a[44:45], v[84:87]// 0000000081F0: D3F30054 1D525984
	v_mfma_f32_16x16x32_fp8_fp8 v[84:87], a[134:135], a[46:47], v[84:87]// 0000000081F8: D3F30054 1D525D86
	v_mfma_f32_16x16x32_fp8_fp8 v[96:99], a[136:137], a[40:41], v[96:99]// 000000008200: D3F30060 1D825188
	v_mfma_f32_16x16x32_fp8_fp8 v[96:99], a[138:139], a[42:43], v[96:99]// 000000008208: D3F30060 1D82558A
	v_mfma_f32_16x16x32_fp8_fp8 v[96:99], a[140:141], a[44:45], v[96:99]// 000000008210: D3F30060 1D82598C
	v_mfma_f32_16x16x32_fp8_fp8 v[96:99], a[142:143], a[46:47], v[96:99]// 000000008218: D3F30060 1D825D8E
	s_waitcnt vmcnt(14)                                        // 000000008220: BF8C0F7E
	s_barrier                                                  // 000000008224: BF8A0000
	v_mfma_f32_16x16x32_fp8_fp8 v[100:103], a[48:49], a[24:25], v[100:103]// 000000008228: D3F30064 1D923130
	buffer_load_dwordx4 a[112:115], v48, s[84:87], 0 offen     // 000000008230: E05C1000 80957030
	v_mfma_f32_16x16x32_fp8_fp8 v[100:103], a[50:51], a[26:27], v[100:103]// 000000008238: D3F30064 1D923532
	v_mfma_f32_16x16x32_fp8_fp8 v[100:103], a[52:53], a[28:29], v[100:103]// 000000008240: D3F30064 1D923934
	ds_read_b128 a[0:3], v2 offset:12544                       // 000000008248: DBFE3100 00000002
	ds_read_b128 a[4:7], v2 offset:12608                       // 000000008250: DBFE3140 04000002
	v_mfma_f32_16x16x32_fp8_fp8 v[100:103], a[54:55], a[30:31], v[100:103]// 000000008258: D3F30064 1D923D36
	v_mfma_f32_16x16x32_fp8_fp8 v[112:115], a[56:57], a[24:25], v[112:115]// 000000008260: D3F30070 1DC23138
	buffer_load_dwordx4 a[116:119], v48, s[84:87], 0 offen offset:1024// 000000008268: E05C1400 80957430
	v_mfma_f32_16x16x32_fp8_fp8 v[112:115], a[58:59], a[26:27], v[112:115]// 000000008270: D3F30070 1DC2353A
	v_mfma_f32_16x16x32_fp8_fp8 v[112:115], a[60:61], a[28:29], v[112:115]// 000000008278: D3F30070 1DC2393C
	ds_read_b128 a[8:11], v2 offset:13056                      // 000000008280: DBFE3300 08000002
	ds_read_b128 a[12:15], v2 offset:13120                     // 000000008288: DBFE3340 0C000002
	v_mfma_f32_16x16x32_fp8_fp8 v[112:115], a[62:63], a[30:31], v[112:115]// 000000008290: D3F30070 1DC23D3E
	v_mfma_f32_16x16x32_fp8_fp8 v[124:127], a[64:65], a[24:25], v[124:127]// 000000008298: D3F3007C 1DF23140
	buffer_load_dwordx4 a[120:123], v49, s[84:87], 0 offen     // 0000000082A0: E05C1000 80957831
	v_mfma_f32_16x16x32_fp8_fp8 v[124:127], a[66:67], a[26:27], v[124:127]// 0000000082A8: D3F3007C 1DF23542
	v_mfma_f32_16x16x32_fp8_fp8 v[124:127], a[68:69], a[28:29], v[124:127]// 0000000082B0: D3F3007C 1DF23944
	ds_read_b128 a[16:19], v2 offset:13568                     // 0000000082B8: DBFE3500 10000002
	ds_read_b128 a[20:23], v2 offset:13632                     // 0000000082C0: DBFE3540 14000002
	v_mfma_f32_16x16x32_fp8_fp8 v[124:127], a[70:71], a[30:31], v[124:127]// 0000000082C8: D3F3007C 1DF23D46
	v_mfma_f32_16x16x32_fp8_fp8 v[136:139], a[72:73], a[24:25], v[136:139]// 0000000082D0: D3F30088 1E223148
	buffer_load_dwordx4 a[124:127], v49, s[84:87], 0 offen offset:1024// 0000000082D8: E05C1400 80957C31
	v_mfma_f32_16x16x32_fp8_fp8 v[136:139], a[74:75], a[26:27], v[136:139]// 0000000082E0: D3F30088 1E22354A
	v_mfma_f32_16x16x32_fp8_fp8 v[136:139], a[76:77], a[28:29], v[136:139]// 0000000082E8: D3F30088 1E22394C
	v_mfma_f32_16x16x32_fp8_fp8 v[136:139], a[78:79], a[30:31], v[136:139]// 0000000082F0: D3F30088 1E223D4E
	v_mfma_f32_16x16x32_fp8_fp8 v[104:107], a[48:49], a[32:33], v[104:107]// 0000000082F8: D3F30068 1DA24130
	buffer_load_dwordx4 a[128:131], v50, s[84:87], 0 offen     // 000000008300: E05C1000 80958032
	v_mfma_f32_16x16x32_fp8_fp8 v[104:107], a[50:51], a[34:35], v[104:107]// 000000008308: D3F30068 1DA24532
	v_mfma_f32_16x16x32_fp8_fp8 v[104:107], a[52:53], a[36:37], v[104:107]// 000000008310: D3F30068 1DA24934
	v_mfma_f32_16x16x32_fp8_fp8 v[104:107], a[54:55], a[38:39], v[104:107]// 000000008318: D3F30068 1DA24D36
	v_mfma_f32_16x16x32_fp8_fp8 v[116:119], a[56:57], a[32:33], v[116:119]// 000000008320: D3F30074 1DD24138
	buffer_load_dwordx4 a[132:135], v50, s[84:87], 0 offen offset:1024// 000000008328: E05C1400 80958432
	v_mfma_f32_16x16x32_fp8_fp8 v[116:119], a[58:59], a[34:35], v[116:119]// 000000008330: D3F30074 1DD2453A
	v_mfma_f32_16x16x32_fp8_fp8 v[116:119], a[60:61], a[36:37], v[116:119]// 000000008338: D3F30074 1DD2493C
	v_mfma_f32_16x16x32_fp8_fp8 v[116:119], a[62:63], a[38:39], v[116:119]// 000000008340: D3F30074 1DD24D3E
	v_mfma_f32_16x16x32_fp8_fp8 v[128:131], a[64:65], a[32:33], v[128:131]// 000000008348: D3F30080 1E024140
	buffer_load_dwordx4 a[136:139], v51, s[84:87], 0 offen     // 000000008350: E05C1000 80958833
	v_mfma_f32_16x16x32_fp8_fp8 v[128:131], a[66:67], a[34:35], v[128:131]// 000000008358: D3F30080 1E024542
	v_mfma_f32_16x16x32_fp8_fp8 v[128:131], a[68:69], a[36:37], v[128:131]// 000000008360: D3F30080 1E024944
	v_mfma_f32_16x16x32_fp8_fp8 v[128:131], a[70:71], a[38:39], v[128:131]// 000000008368: D3F30080 1E024D46
	v_mfma_f32_16x16x32_fp8_fp8 v[140:143], a[72:73], a[32:33], v[140:143]// 000000008370: D3F3008C 1E324148
	buffer_load_dwordx4 a[140:143], v51, s[84:87], 0 offen offset:1024// 000000008378: E05C1400 80958C33
	v_mfma_f32_16x16x32_fp8_fp8 v[140:143], a[74:75], a[34:35], v[140:143]// 000000008380: D3F3008C 1E32454A
	v_mfma_f32_16x16x32_fp8_fp8 v[140:143], a[76:77], a[36:37], v[140:143]// 000000008388: D3F3008C 1E32494C
	v_mfma_f32_16x16x32_fp8_fp8 v[140:143], a[78:79], a[38:39], v[140:143]// 000000008390: D3F3008C 1E324D4E
	v_mfma_f32_16x16x32_fp8_fp8 v[108:111], a[48:49], a[40:41], v[108:111]// 000000008398: D3F3006C 1DB25130
	v_mfma_f32_16x16x32_fp8_fp8 v[108:111], a[50:51], a[42:43], v[108:111]// 0000000083A0: D3F3006C 1DB25532
	v_mfma_f32_16x16x32_fp8_fp8 v[108:111], a[52:53], a[44:45], v[108:111]// 0000000083A8: D3F3006C 1DB25934
	v_mfma_f32_16x16x32_fp8_fp8 v[108:111], a[54:55], a[46:47], v[108:111]// 0000000083B0: D3F3006C 1DB25D36
	v_mfma_f32_16x16x32_fp8_fp8 v[120:123], a[56:57], a[40:41], v[120:123]// 0000000083B8: D3F30078 1DE25138
	v_mfma_f32_16x16x32_fp8_fp8 v[120:123], a[58:59], a[42:43], v[120:123]// 0000000083C0: D3F30078 1DE2553A
	v_mfma_f32_16x16x32_fp8_fp8 v[120:123], a[60:61], a[44:45], v[120:123]// 0000000083C8: D3F30078 1DE2593C
	v_mfma_f32_16x16x32_fp8_fp8 v[120:123], a[62:63], a[46:47], v[120:123]// 0000000083D0: D3F30078 1DE25D3E
	v_mfma_f32_16x16x32_fp8_fp8 v[132:135], a[64:65], a[40:41], v[132:135]// 0000000083D8: D3F30084 1E125140
	s_add_u32 s60, 0x180, s80                                  // 0000000083E0: 803C50FF 00000180
	s_cmp_lt_u32 s60, s81                                      // 0000000083E8: BF0A513C
	s_cselect_b32 s57, s57, 0                                  // 0000000083EC: 85398039
	v_mfma_f32_16x16x32_fp8_fp8 v[132:135], a[66:67], a[42:43], v[132:135]// 0000000083F0: D3F30084 1E125542
	s_add_u32 s60, 0x100, s80                                  // 0000000083F8: 803C50FF 00000100
	s_cmp_lt_u32 s60, s81                                      // 000000008400: BF0A513C
	s_cselect_b32 s58, s58, 0                                  // 000000008404: 853A803A
	v_mfma_f32_16x16x32_fp8_fp8 v[132:135], a[68:69], a[44:45], v[132:135]// 000000008408: D3F30084 1E125944
	s_add_u32 s60, 0x100, s80                                  // 000000008410: 803C50FF 00000100
	s_cmp_lt_u32 s60, s81                                      // 000000008418: BF0A513C
	s_cselect_b32 s83, s83, 0                                  // 00000000841C: 85538053
	v_mfma_f32_16x16x32_fp8_fp8 v[132:135], a[70:71], a[46:47], v[132:135]// 000000008420: D3F30084 1E125D46
	s_add_u32 s24, s58, s24                                    // 000000008428: 8018183A
	s_addc_u32 s25, 0, s25                                     // 00000000842C: 82191980
	v_mfma_f32_16x16x32_fp8_fp8 v[144:147], a[72:73], a[40:41], v[144:147]// 000000008430: D3F30090 1E425148
	s_add_u32 s20, s57, s20                                    // 000000008438: 80141439
	s_addc_u32 s21, 0, s21                                     // 00000000843C: 82151580
	v_mfma_f32_16x16x32_fp8_fp8 v[144:147], a[74:75], a[42:43], v[144:147]// 000000008440: D3F30090 1E42554A
	s_add_u32 s84, s83, s84                                    // 000000008448: 80545453
	s_addc_u32 s85, 0, s85                                     // 00000000844C: 82555580
	v_mfma_f32_16x16x32_fp8_fp8 v[144:147], a[76:77], a[44:45], v[144:147]// 000000008450: D3F30090 1E42594C
	v_mfma_f32_16x16x32_fp8_fp8 v[144:147], a[78:79], a[46:47], v[144:147]// 000000008458: D3F30090 1E425D4E
	s_addk_i32 s80, 0x80                                       // 000000008460: B7500080
	s_cmp_lt_i32 s80, s81                                      // 000000008464: BF045150
	s_cbranch_scc0 label_1B0B                                  // 000000008468: BF84046D
	s_waitcnt vmcnt(14) lgkmcnt(0)                             // 00000000846C: BF8C007E
	v_mfma_f32_16x16x32_fp8_fp8 v[52:55], a[80:81], a[0:1], v[52:55]// 000000008470: D3F30034 1CD20150
	buffer_load_dwordx4 a[48:51], v48, s[24:27], 0 offen       // 000000008478: E05C1000 80863030
	v_mfma_f32_16x16x32_fp8_fp8 v[52:55], a[82:83], a[2:3], v[52:55]// 000000008480: D3F30034 1CD20552
	v_mfma_f32_16x16x32_fp8_fp8 v[52:55], a[84:85], a[4:5], v[52:55]// 000000008488: D3F30034 1CD20954
	v_mfma_f32_16x16x32_fp8_fp8 v[52:55], a[86:87], a[6:7], v[52:55]// 000000008490: D3F30034 1CD20D56
	v_mfma_f32_16x16x32_fp8_fp8 v[64:67], a[88:89], a[0:1], v[64:67]// 000000008498: D3F30040 1D020158
	buffer_load_dwordx4 a[52:55], v48, s[24:27], 0 offen offset:1024// 0000000084A0: E05C1400 80863430
	v_mfma_f32_16x16x32_fp8_fp8 v[64:67], a[90:91], a[2:3], v[64:67]// 0000000084A8: D3F30040 1D02055A
	v_mfma_f32_16x16x32_fp8_fp8 v[64:67], a[92:93], a[4:5], v[64:67]// 0000000084B0: D3F30040 1D02095C
	v_mfma_f32_16x16x32_fp8_fp8 v[64:67], a[94:95], a[6:7], v[64:67]// 0000000084B8: D3F30040 1D020D5E
	v_mfma_f32_16x16x32_fp8_fp8 v[76:79], a[96:97], a[0:1], v[76:79]// 0000000084C0: D3F3004C 1D320160
	buffer_load_dwordx4 a[56:59], v49, s[24:27], 0 offen       // 0000000084C8: E05C1000 80863831
	v_mfma_f32_16x16x32_fp8_fp8 v[76:79], a[98:99], a[2:3], v[76:79]// 0000000084D0: D3F3004C 1D320562
	v_mfma_f32_16x16x32_fp8_fp8 v[76:79], a[100:101], a[4:5], v[76:79]// 0000000084D8: D3F3004C 1D320964
	v_mfma_f32_16x16x32_fp8_fp8 v[76:79], a[102:103], a[6:7], v[76:79]// 0000000084E0: D3F3004C 1D320D66
	v_mfma_f32_16x16x32_fp8_fp8 v[88:91], a[104:105], a[0:1], v[88:91]// 0000000084E8: D3F30058 1D620168
	buffer_load_dwordx4 a[60:63], v49, s[24:27], 0 offen offset:1024// 0000000084F0: E05C1400 80863C31
	v_mfma_f32_16x16x32_fp8_fp8 v[88:91], a[106:107], a[2:3], v[88:91]// 0000000084F8: D3F30058 1D62056A
	v_mfma_f32_16x16x32_fp8_fp8 v[88:91], a[108:109], a[4:5], v[88:91]// 000000008500: D3F30058 1D62096C
	v_mfma_f32_16x16x32_fp8_fp8 v[88:91], a[110:111], a[6:7], v[88:91]// 000000008508: D3F30058 1D620D6E
	v_mfma_f32_16x16x32_fp8_fp8 v[56:59], a[80:81], a[8:9], v[56:59]// 000000008510: D3F30038 1CE21150
	buffer_load_dwordx4 a[64:67], v50, s[24:27], 0 offen       // 000000008518: E05C1000 80864032
	v_mfma_f32_16x16x32_fp8_fp8 v[56:59], a[82:83], a[10:11], v[56:59]// 000000008520: D3F30038 1CE21552
	v_mfma_f32_16x16x32_fp8_fp8 v[56:59], a[84:85], a[12:13], v[56:59]// 000000008528: D3F30038 1CE21954
	v_mfma_f32_16x16x32_fp8_fp8 v[56:59], a[86:87], a[14:15], v[56:59]// 000000008530: D3F30038 1CE21D56
	v_mfma_f32_16x16x32_fp8_fp8 v[68:71], a[88:89], a[8:9], v[68:71]// 000000008538: D3F30044 1D121158
	buffer_load_dwordx4 a[68:71], v50, s[24:27], 0 offen offset:1024// 000000008540: E05C1400 80864432
	v_mfma_f32_16x16x32_fp8_fp8 v[68:71], a[90:91], a[10:11], v[68:71]// 000000008548: D3F30044 1D12155A
	v_mfma_f32_16x16x32_fp8_fp8 v[68:71], a[92:93], a[12:13], v[68:71]// 000000008550: D3F30044 1D12195C
	v_mfma_f32_16x16x32_fp8_fp8 v[68:71], a[94:95], a[14:15], v[68:71]// 000000008558: D3F30044 1D121D5E
	v_mfma_f32_16x16x32_fp8_fp8 v[80:83], a[96:97], a[8:9], v[80:83]// 000000008560: D3F30050 1D421160
	buffer_load_dwordx4 a[72:75], v51, s[24:27], 0 offen       // 000000008568: E05C1000 80864833
	v_mfma_f32_16x16x32_fp8_fp8 v[80:83], a[98:99], a[10:11], v[80:83]// 000000008570: D3F30050 1D421562
	v_mfma_f32_16x16x32_fp8_fp8 v[80:83], a[100:101], a[12:13], v[80:83]// 000000008578: D3F30050 1D421964
	v_mfma_f32_16x16x32_fp8_fp8 v[80:83], a[102:103], a[14:15], v[80:83]// 000000008580: D3F30050 1D421D66
	v_mfma_f32_16x16x32_fp8_fp8 v[92:95], a[104:105], a[8:9], v[92:95]// 000000008588: D3F3005C 1D721168
	buffer_load_dwordx4 a[76:79], v51, s[24:27], 0 offen offset:1024// 000000008590: E05C1400 80864C33
	buffer_load_dword v42, s[20:23], 0 offen lds               // 000000008598: E0511000 8005002A
	s_add_u32 m0, 0x100, s49                                   // 0000000085A0: 807C31FF 00000100
	v_mfma_f32_16x16x32_fp8_fp8 v[92:95], a[106:107], a[10:11], v[92:95]// 0000000085A8: D3F3005C 1D72156A
	v_mfma_f32_16x16x32_fp8_fp8 v[92:95], a[108:109], a[12:13], v[92:95]// 0000000085B0: D3F3005C 1D72196C
	buffer_load_dword v43, s[20:23], 0 offen lds               // 0000000085B8: E0511000 8005002B
	s_add_u32 m0, 0x200, s49                                   // 0000000085C0: 807C31FF 00000200
	v_mfma_f32_16x16x32_fp8_fp8 v[92:95], a[110:111], a[14:15], v[92:95]// 0000000085C8: D3F3005C 1D721D6E
	v_mfma_f32_16x16x32_fp8_fp8 v[60:63], a[80:81], a[16:17], v[60:63]// 0000000085D0: D3F3003C 1CF22150
	buffer_load_dword v44, s[20:23], 0 offen lds               // 0000000085D8: E0511000 8005002C
	s_add_u32 m0, 0x300, s49                                   // 0000000085E0: 807C31FF 00000300
	v_mfma_f32_16x16x32_fp8_fp8 v[60:63], a[82:83], a[18:19], v[60:63]// 0000000085E8: D3F3003C 1CF22552
	v_mfma_f32_16x16x32_fp8_fp8 v[60:63], a[84:85], a[20:21], v[60:63]// 0000000085F0: D3F3003C 1CF22954
	buffer_load_dword v45, s[20:23], 0 offen lds               // 0000000085F8: E0511000 8005002D
	s_add_u32 m0, 0x400, s49                                   // 000000008600: 807C31FF 00000400
	v_mfma_f32_16x16x32_fp8_fp8 v[60:63], a[86:87], a[22:23], v[60:63]// 000000008608: D3F3003C 1CF22D56
	v_mfma_f32_16x16x32_fp8_fp8 v[72:75], a[88:89], a[16:17], v[72:75]// 000000008610: D3F30048 1D222158
	buffer_load_dword v46, s[20:23], 0 offen lds               // 000000008618: E0511000 8005002E
	s_add_u32 m0, 0x500, s49                                   // 000000008620: 807C31FF 00000500
	v_mfma_f32_16x16x32_fp8_fp8 v[72:75], a[90:91], a[18:19], v[72:75]// 000000008628: D3F30048 1D22255A
	v_mfma_f32_16x16x32_fp8_fp8 v[72:75], a[92:93], a[20:21], v[72:75]// 000000008630: D3F30048 1D22295C
	buffer_load_dword v47, s[20:23], 0 offen lds               // 000000008638: E0511000 8005002F
	s_add_u32 m0, 0, s50                                       // 000000008640: 807C3280
	v_mfma_f32_16x16x32_fp8_fp8 v[72:75], a[94:95], a[22:23], v[72:75]// 000000008644: D3F30048 1D222D5E
	v_mfma_f32_16x16x32_fp8_fp8 v[84:87], a[96:97], a[16:17], v[84:87]// 00000000864C: D3F30054 1D522160
	v_mfma_f32_16x16x32_fp8_fp8 v[84:87], a[98:99], a[18:19], v[84:87]// 000000008654: D3F30054 1D522562
	v_mfma_f32_16x16x32_fp8_fp8 v[84:87], a[100:101], a[20:21], v[84:87]// 00000000865C: D3F30054 1D522964
	v_mfma_f32_16x16x32_fp8_fp8 v[84:87], a[102:103], a[22:23], v[84:87]// 000000008664: D3F30054 1D522D66
	v_mfma_f32_16x16x32_fp8_fp8 v[96:99], a[104:105], a[16:17], v[96:99]// 00000000866C: D3F30060 1D822168
	v_mfma_f32_16x16x32_fp8_fp8 v[96:99], a[106:107], a[18:19], v[96:99]// 000000008674: D3F30060 1D82256A
	v_mfma_f32_16x16x32_fp8_fp8 v[96:99], a[108:109], a[20:21], v[96:99]// 00000000867C: D3F30060 1D82296C
	v_mfma_f32_16x16x32_fp8_fp8 v[96:99], a[110:111], a[22:23], v[96:99]// 000000008684: D3F30060 1D822D6E
	s_waitcnt vmcnt(14)                                        // 00000000868C: BF8C0F7E
	s_barrier                                                  // 000000008690: BF8A0000
	v_mfma_f32_16x16x32_fp8_fp8 v[100:103], a[112:113], a[0:1], v[100:103]// 000000008694: D3F30064 1D920170
	buffer_load_dwordx4 a[80:83], v48, s[84:87], 0 offen       // 00000000869C: E05C1000 80955030
	v_mfma_f32_16x16x32_fp8_fp8 v[100:103], a[114:115], a[2:3], v[100:103]// 0000000086A4: D3F30064 1D920572
	v_mfma_f32_16x16x32_fp8_fp8 v[100:103], a[116:117], a[4:5], v[100:103]// 0000000086AC: D3F30064 1D920974
	ds_read_b128 a[24:27], v2                                  // 0000000086B4: DBFE0000 18000002
	ds_read_b128 a[28:31], v2 offset:64                        // 0000000086BC: DBFE0040 1C000002
	v_mfma_f32_16x16x32_fp8_fp8 v[100:103], a[118:119], a[6:7], v[100:103]// 0000000086C4: D3F30064 1D920D76
	v_mfma_f32_16x16x32_fp8_fp8 v[112:115], a[120:121], a[0:1], v[112:115]// 0000000086CC: D3F30070 1DC20178
	buffer_load_dwordx4 a[84:87], v48, s[84:87], 0 offen offset:1024// 0000000086D4: E05C1400 80955430
	v_mfma_f32_16x16x32_fp8_fp8 v[112:115], a[122:123], a[2:3], v[112:115]// 0000000086DC: D3F30070 1DC2057A
	v_mfma_f32_16x16x32_fp8_fp8 v[112:115], a[124:125], a[4:5], v[112:115]// 0000000086E4: D3F30070 1DC2097C
	ds_read_b128 a[32:35], v2 offset:512                       // 0000000086EC: DBFE0200 20000002
	ds_read_b128 a[36:39], v2 offset:576                       // 0000000086F4: DBFE0240 24000002
	v_mfma_f32_16x16x32_fp8_fp8 v[112:115], a[126:127], a[6:7], v[112:115]// 0000000086FC: D3F30070 1DC20D7E
	v_mfma_f32_16x16x32_fp8_fp8 v[124:127], a[128:129], a[0:1], v[124:127]// 000000008704: D3F3007C 1DF20180
	buffer_load_dwordx4 a[88:91], v49, s[84:87], 0 offen       // 00000000870C: E05C1000 80955831
	v_mfma_f32_16x16x32_fp8_fp8 v[124:127], a[130:131], a[2:3], v[124:127]// 000000008714: D3F3007C 1DF20582
	v_mfma_f32_16x16x32_fp8_fp8 v[124:127], a[132:133], a[4:5], v[124:127]// 00000000871C: D3F3007C 1DF20984
	ds_read_b128 a[40:43], v2 offset:1024                      // 000000008724: DBFE0400 28000002
	ds_read_b128 a[44:47], v2 offset:1088                      // 00000000872C: DBFE0440 2C000002
	v_mfma_f32_16x16x32_fp8_fp8 v[124:127], a[134:135], a[6:7], v[124:127]// 000000008734: D3F3007C 1DF20D86
	v_mfma_f32_16x16x32_fp8_fp8 v[136:139], a[136:137], a[0:1], v[136:139]// 00000000873C: D3F30088 1E220188
	buffer_load_dwordx4 a[92:95], v49, s[84:87], 0 offen offset:1024// 000000008744: E05C1400 80955C31
	v_mfma_f32_16x16x32_fp8_fp8 v[136:139], a[138:139], a[2:3], v[136:139]// 00000000874C: D3F30088 1E22058A
	v_mfma_f32_16x16x32_fp8_fp8 v[136:139], a[140:141], a[4:5], v[136:139]// 000000008754: D3F30088 1E22098C
	v_mfma_f32_16x16x32_fp8_fp8 v[136:139], a[142:143], a[6:7], v[136:139]// 00000000875C: D3F30088 1E220D8E
	v_mfma_f32_16x16x32_fp8_fp8 v[104:107], a[112:113], a[8:9], v[104:107]// 000000008764: D3F30068 1DA21170
	buffer_load_dwordx4 a[96:99], v50, s[84:87], 0 offen       // 00000000876C: E05C1000 80956032
	v_mfma_f32_16x16x32_fp8_fp8 v[104:107], a[114:115], a[10:11], v[104:107]// 000000008774: D3F30068 1DA21572
	v_mfma_f32_16x16x32_fp8_fp8 v[104:107], a[116:117], a[12:13], v[104:107]// 00000000877C: D3F30068 1DA21974
	v_mfma_f32_16x16x32_fp8_fp8 v[104:107], a[118:119], a[14:15], v[104:107]// 000000008784: D3F30068 1DA21D76
	v_mfma_f32_16x16x32_fp8_fp8 v[116:119], a[120:121], a[8:9], v[116:119]// 00000000878C: D3F30074 1DD21178
	buffer_load_dwordx4 a[100:103], v50, s[84:87], 0 offen offset:1024// 000000008794: E05C1400 80956432
	v_mfma_f32_16x16x32_fp8_fp8 v[116:119], a[122:123], a[10:11], v[116:119]// 00000000879C: D3F30074 1DD2157A
	v_mfma_f32_16x16x32_fp8_fp8 v[116:119], a[124:125], a[12:13], v[116:119]// 0000000087A4: D3F30074 1DD2197C
	v_mfma_f32_16x16x32_fp8_fp8 v[116:119], a[126:127], a[14:15], v[116:119]// 0000000087AC: D3F30074 1DD21D7E
	v_mfma_f32_16x16x32_fp8_fp8 v[128:131], a[128:129], a[8:9], v[128:131]// 0000000087B4: D3F30080 1E021180
	buffer_load_dwordx4 a[104:107], v51, s[84:87], 0 offen     // 0000000087BC: E05C1000 80956833
	v_mfma_f32_16x16x32_fp8_fp8 v[128:131], a[130:131], a[10:11], v[128:131]// 0000000087C4: D3F30080 1E021582
	v_mfma_f32_16x16x32_fp8_fp8 v[128:131], a[132:133], a[12:13], v[128:131]// 0000000087CC: D3F30080 1E021984
	v_mfma_f32_16x16x32_fp8_fp8 v[128:131], a[134:135], a[14:15], v[128:131]// 0000000087D4: D3F30080 1E021D86
	v_mfma_f32_16x16x32_fp8_fp8 v[140:143], a[136:137], a[8:9], v[140:143]// 0000000087DC: D3F3008C 1E321188
	buffer_load_dwordx4 a[108:111], v51, s[84:87], 0 offen offset:1024// 0000000087E4: E05C1400 80956C33
	v_mfma_f32_16x16x32_fp8_fp8 v[140:143], a[138:139], a[10:11], v[140:143]// 0000000087EC: D3F3008C 1E32158A
	v_mfma_f32_16x16x32_fp8_fp8 v[140:143], a[140:141], a[12:13], v[140:143]// 0000000087F4: D3F3008C 1E32198C
	v_mfma_f32_16x16x32_fp8_fp8 v[140:143], a[142:143], a[14:15], v[140:143]// 0000000087FC: D3F3008C 1E321D8E
	v_mfma_f32_16x16x32_fp8_fp8 v[108:111], a[112:113], a[16:17], v[108:111]// 000000008804: D3F3006C 1DB22170
	v_mfma_f32_16x16x32_fp8_fp8 v[108:111], a[114:115], a[18:19], v[108:111]// 00000000880C: D3F3006C 1DB22572
	v_mfma_f32_16x16x32_fp8_fp8 v[108:111], a[116:117], a[20:21], v[108:111]// 000000008814: D3F3006C 1DB22974
	v_mfma_f32_16x16x32_fp8_fp8 v[108:111], a[118:119], a[22:23], v[108:111]// 00000000881C: D3F3006C 1DB22D76
	v_mfma_f32_16x16x32_fp8_fp8 v[120:123], a[120:121], a[16:17], v[120:123]// 000000008824: D3F30078 1DE22178
	v_mfma_f32_16x16x32_fp8_fp8 v[120:123], a[122:123], a[18:19], v[120:123]// 00000000882C: D3F30078 1DE2257A
	v_mfma_f32_16x16x32_fp8_fp8 v[120:123], a[124:125], a[20:21], v[120:123]// 000000008834: D3F30078 1DE2297C
	v_mfma_f32_16x16x32_fp8_fp8 v[120:123], a[126:127], a[22:23], v[120:123]// 00000000883C: D3F30078 1DE22D7E
	v_mfma_f32_16x16x32_fp8_fp8 v[132:135], a[128:129], a[16:17], v[132:135]// 000000008844: D3F30084 1E122180
	s_add_u32 s60, 0x180, s80                                  // 00000000884C: 803C50FF 00000180
	s_cmp_lt_u32 s60, s81                                      // 000000008854: BF0A513C
	s_cselect_b32 s57, s57, 0                                  // 000000008858: 85398039
	v_mfma_f32_16x16x32_fp8_fp8 v[132:135], a[130:131], a[18:19], v[132:135]// 00000000885C: D3F30084 1E122582
	s_add_u32 s60, 0x100, s80                                  // 000000008864: 803C50FF 00000100
	s_cmp_lt_u32 s60, s81                                      // 00000000886C: BF0A513C
	s_cselect_b32 s58, s58, 0                                  // 000000008870: 853A803A
	v_mfma_f32_16x16x32_fp8_fp8 v[132:135], a[132:133], a[20:21], v[132:135]// 000000008874: D3F30084 1E122984
	s_add_u32 s60, 0x100, s80                                  // 00000000887C: 803C50FF 00000100
	s_cmp_lt_u32 s60, s81                                      // 000000008884: BF0A513C
	s_cselect_b32 s83, s83, 0                                  // 000000008888: 85538053
	v_mfma_f32_16x16x32_fp8_fp8 v[132:135], a[134:135], a[22:23], v[132:135]// 00000000888C: D3F30084 1E122D86
	s_add_u32 s24, s58, s24                                    // 000000008894: 8018183A
	s_addc_u32 s25, 0, s25                                     // 000000008898: 82191980
	v_mfma_f32_16x16x32_fp8_fp8 v[144:147], a[136:137], a[16:17], v[144:147]// 00000000889C: D3F30090 1E422188
	s_add_u32 s20, s57, s20                                    // 0000000088A4: 80141439
	s_addc_u32 s21, 0, s21                                     // 0000000088A8: 82151580
	v_mfma_f32_16x16x32_fp8_fp8 v[144:147], a[138:139], a[18:19], v[144:147]// 0000000088AC: D3F30090 1E42258A
	s_add_u32 s84, s83, s84                                    // 0000000088B4: 80545453
	s_addc_u32 s85, 0, s85                                     // 0000000088B8: 82555580
	v_mfma_f32_16x16x32_fp8_fp8 v[144:147], a[140:141], a[20:21], v[144:147]// 0000000088BC: D3F30090 1E42298C
	v_mfma_f32_16x16x32_fp8_fp8 v[144:147], a[142:143], a[22:23], v[144:147]// 0000000088C4: D3F30090 1E422D8E
	s_addk_i32 s80, 0x80                                       // 0000000088CC: B7500080
	s_cmp_lt_i32 s80, s81                                      // 0000000088D0: BF045150
	s_cbranch_scc0 label_1B0B                                  // 0000000088D4: BF840352
	s_waitcnt vmcnt(14) lgkmcnt(0)                             // 0000000088D8: BF8C007E
	v_mfma_f32_16x16x32_fp8_fp8 v[52:55], a[48:49], a[24:25], v[52:55]// 0000000088DC: D3F30034 1CD23130
	buffer_load_dwordx4 a[112:115], v48, s[24:27], 0 offen     // 0000000088E4: E05C1000 80867030
	v_mfma_f32_16x16x32_fp8_fp8 v[52:55], a[50:51], a[26:27], v[52:55]// 0000000088EC: D3F30034 1CD23532
	v_mfma_f32_16x16x32_fp8_fp8 v[52:55], a[52:53], a[28:29], v[52:55]// 0000000088F4: D3F30034 1CD23934
	v_mfma_f32_16x16x32_fp8_fp8 v[52:55], a[54:55], a[30:31], v[52:55]// 0000000088FC: D3F30034 1CD23D36
	v_mfma_f32_16x16x32_fp8_fp8 v[64:67], a[56:57], a[24:25], v[64:67]// 000000008904: D3F30040 1D023138
	buffer_load_dwordx4 a[116:119], v48, s[24:27], 0 offen offset:1024// 00000000890C: E05C1400 80867430
	v_mfma_f32_16x16x32_fp8_fp8 v[64:67], a[58:59], a[26:27], v[64:67]// 000000008914: D3F30040 1D02353A
	v_mfma_f32_16x16x32_fp8_fp8 v[64:67], a[60:61], a[28:29], v[64:67]// 00000000891C: D3F30040 1D02393C
	v_mfma_f32_16x16x32_fp8_fp8 v[64:67], a[62:63], a[30:31], v[64:67]// 000000008924: D3F30040 1D023D3E
	v_mfma_f32_16x16x32_fp8_fp8 v[76:79], a[64:65], a[24:25], v[76:79]// 00000000892C: D3F3004C 1D323140
	buffer_load_dwordx4 a[120:123], v49, s[24:27], 0 offen     // 000000008934: E05C1000 80867831
	v_mfma_f32_16x16x32_fp8_fp8 v[76:79], a[66:67], a[26:27], v[76:79]// 00000000893C: D3F3004C 1D323542
	v_mfma_f32_16x16x32_fp8_fp8 v[76:79], a[68:69], a[28:29], v[76:79]// 000000008944: D3F3004C 1D323944
	v_mfma_f32_16x16x32_fp8_fp8 v[76:79], a[70:71], a[30:31], v[76:79]// 00000000894C: D3F3004C 1D323D46
	v_mfma_f32_16x16x32_fp8_fp8 v[88:91], a[72:73], a[24:25], v[88:91]// 000000008954: D3F30058 1D623148
	buffer_load_dwordx4 a[124:127], v49, s[24:27], 0 offen offset:1024// 00000000895C: E05C1400 80867C31
	v_mfma_f32_16x16x32_fp8_fp8 v[88:91], a[74:75], a[26:27], v[88:91]// 000000008964: D3F30058 1D62354A
	v_mfma_f32_16x16x32_fp8_fp8 v[88:91], a[76:77], a[28:29], v[88:91]// 00000000896C: D3F30058 1D62394C
	v_mfma_f32_16x16x32_fp8_fp8 v[88:91], a[78:79], a[30:31], v[88:91]// 000000008974: D3F30058 1D623D4E
	v_mfma_f32_16x16x32_fp8_fp8 v[56:59], a[48:49], a[32:33], v[56:59]// 00000000897C: D3F30038 1CE24130
	buffer_load_dwordx4 a[128:131], v50, s[24:27], 0 offen     // 000000008984: E05C1000 80868032
	v_mfma_f32_16x16x32_fp8_fp8 v[56:59], a[50:51], a[34:35], v[56:59]// 00000000898C: D3F30038 1CE24532
	v_mfma_f32_16x16x32_fp8_fp8 v[56:59], a[52:53], a[36:37], v[56:59]// 000000008994: D3F30038 1CE24934
	v_mfma_f32_16x16x32_fp8_fp8 v[56:59], a[54:55], a[38:39], v[56:59]// 00000000899C: D3F30038 1CE24D36
	v_mfma_f32_16x16x32_fp8_fp8 v[68:71], a[56:57], a[32:33], v[68:71]// 0000000089A4: D3F30044 1D124138
	buffer_load_dwordx4 a[132:135], v50, s[24:27], 0 offen offset:1024// 0000000089AC: E05C1400 80868432
	v_mfma_f32_16x16x32_fp8_fp8 v[68:71], a[58:59], a[34:35], v[68:71]// 0000000089B4: D3F30044 1D12453A
	v_mfma_f32_16x16x32_fp8_fp8 v[68:71], a[60:61], a[36:37], v[68:71]// 0000000089BC: D3F30044 1D12493C
	v_mfma_f32_16x16x32_fp8_fp8 v[68:71], a[62:63], a[38:39], v[68:71]// 0000000089C4: D3F30044 1D124D3E
	v_mfma_f32_16x16x32_fp8_fp8 v[80:83], a[64:65], a[32:33], v[80:83]// 0000000089CC: D3F30050 1D424140
	buffer_load_dwordx4 a[136:139], v51, s[24:27], 0 offen     // 0000000089D4: E05C1000 80868833
	v_mfma_f32_16x16x32_fp8_fp8 v[80:83], a[66:67], a[34:35], v[80:83]// 0000000089DC: D3F30050 1D424542
	v_mfma_f32_16x16x32_fp8_fp8 v[80:83], a[68:69], a[36:37], v[80:83]// 0000000089E4: D3F30050 1D424944
	v_mfma_f32_16x16x32_fp8_fp8 v[80:83], a[70:71], a[38:39], v[80:83]// 0000000089EC: D3F30050 1D424D46
	v_mfma_f32_16x16x32_fp8_fp8 v[92:95], a[72:73], a[32:33], v[92:95]// 0000000089F4: D3F3005C 1D724148
	buffer_load_dwordx4 a[140:143], v51, s[24:27], 0 offen offset:1024// 0000000089FC: E05C1400 80868C33
	buffer_load_dword v42, s[20:23], 0 offen lds               // 000000008A04: E0511000 8005002A
	s_add_u32 m0, 0x100, s50                                   // 000000008A0C: 807C32FF 00000100
	v_mfma_f32_16x16x32_fp8_fp8 v[92:95], a[74:75], a[34:35], v[92:95]// 000000008A14: D3F3005C 1D72454A
	v_mfma_f32_16x16x32_fp8_fp8 v[92:95], a[76:77], a[36:37], v[92:95]// 000000008A1C: D3F3005C 1D72494C
	buffer_load_dword v43, s[20:23], 0 offen lds               // 000000008A24: E0511000 8005002B
	s_add_u32 m0, 0x200, s50                                   // 000000008A2C: 807C32FF 00000200
	v_mfma_f32_16x16x32_fp8_fp8 v[92:95], a[78:79], a[38:39], v[92:95]// 000000008A34: D3F3005C 1D724D4E
	v_mfma_f32_16x16x32_fp8_fp8 v[60:63], a[48:49], a[40:41], v[60:63]// 000000008A3C: D3F3003C 1CF25130
	buffer_load_dword v44, s[20:23], 0 offen lds               // 000000008A44: E0511000 8005002C
	s_add_u32 m0, 0x300, s50                                   // 000000008A4C: 807C32FF 00000300
	v_mfma_f32_16x16x32_fp8_fp8 v[60:63], a[50:51], a[42:43], v[60:63]// 000000008A54: D3F3003C 1CF25532
	v_mfma_f32_16x16x32_fp8_fp8 v[60:63], a[52:53], a[44:45], v[60:63]// 000000008A5C: D3F3003C 1CF25934
	buffer_load_dword v45, s[20:23], 0 offen lds               // 000000008A64: E0511000 8005002D
	s_add_u32 m0, 0x400, s50                                   // 000000008A6C: 807C32FF 00000400
	v_mfma_f32_16x16x32_fp8_fp8 v[60:63], a[54:55], a[46:47], v[60:63]// 000000008A74: D3F3003C 1CF25D36
	v_mfma_f32_16x16x32_fp8_fp8 v[72:75], a[56:57], a[40:41], v[72:75]// 000000008A7C: D3F30048 1D225138
	buffer_load_dword v46, s[20:23], 0 offen lds               // 000000008A84: E0511000 8005002E
	s_add_u32 m0, 0x500, s50                                   // 000000008A8C: 807C32FF 00000500
	v_mfma_f32_16x16x32_fp8_fp8 v[72:75], a[58:59], a[42:43], v[72:75]// 000000008A94: D3F30048 1D22553A
	v_mfma_f32_16x16x32_fp8_fp8 v[72:75], a[60:61], a[44:45], v[72:75]// 000000008A9C: D3F30048 1D22593C
	buffer_load_dword v47, s[20:23], 0 offen lds               // 000000008AA4: E0511000 8005002F
	s_add_u32 m0, 0, s48                                       // 000000008AAC: 807C3080
	v_mfma_f32_16x16x32_fp8_fp8 v[72:75], a[62:63], a[46:47], v[72:75]// 000000008AB0: D3F30048 1D225D3E
	v_mfma_f32_16x16x32_fp8_fp8 v[84:87], a[64:65], a[40:41], v[84:87]// 000000008AB8: D3F30054 1D525140
	v_mfma_f32_16x16x32_fp8_fp8 v[84:87], a[66:67], a[42:43], v[84:87]// 000000008AC0: D3F30054 1D525542
	v_mfma_f32_16x16x32_fp8_fp8 v[84:87], a[68:69], a[44:45], v[84:87]// 000000008AC8: D3F30054 1D525944
	v_mfma_f32_16x16x32_fp8_fp8 v[84:87], a[70:71], a[46:47], v[84:87]// 000000008AD0: D3F30054 1D525D46
	v_mfma_f32_16x16x32_fp8_fp8 v[96:99], a[72:73], a[40:41], v[96:99]// 000000008AD8: D3F30060 1D825148
	v_mfma_f32_16x16x32_fp8_fp8 v[96:99], a[74:75], a[42:43], v[96:99]// 000000008AE0: D3F30060 1D82554A
	v_mfma_f32_16x16x32_fp8_fp8 v[96:99], a[76:77], a[44:45], v[96:99]// 000000008AE8: D3F30060 1D82594C
	v_mfma_f32_16x16x32_fp8_fp8 v[96:99], a[78:79], a[46:47], v[96:99]// 000000008AF0: D3F30060 1D825D4E
	s_waitcnt vmcnt(14)                                        // 000000008AF8: BF8C0F7E
	s_barrier                                                  // 000000008AFC: BF8A0000
	v_mfma_f32_16x16x32_fp8_fp8 v[100:103], a[80:81], a[24:25], v[100:103]// 000000008B00: D3F30064 1D923150
	buffer_load_dwordx4 a[48:51], v48, s[84:87], 0 offen       // 000000008B08: E05C1000 80953030
	v_mfma_f32_16x16x32_fp8_fp8 v[100:103], a[82:83], a[26:27], v[100:103]// 000000008B10: D3F30064 1D923552
	v_mfma_f32_16x16x32_fp8_fp8 v[100:103], a[84:85], a[28:29], v[100:103]// 000000008B18: D3F30064 1D923954
	ds_read_b128 a[0:3], v2 offset:6272                        // 000000008B20: DBFE1880 00000002
	ds_read_b128 a[4:7], v2 offset:6336                        // 000000008B28: DBFE18C0 04000002
	v_mfma_f32_16x16x32_fp8_fp8 v[100:103], a[86:87], a[30:31], v[100:103]// 000000008B30: D3F30064 1D923D56
	v_mfma_f32_16x16x32_fp8_fp8 v[112:115], a[88:89], a[24:25], v[112:115]// 000000008B38: D3F30070 1DC23158
	buffer_load_dwordx4 a[52:55], v48, s[84:87], 0 offen offset:1024// 000000008B40: E05C1400 80953430
	v_mfma_f32_16x16x32_fp8_fp8 v[112:115], a[90:91], a[26:27], v[112:115]// 000000008B48: D3F30070 1DC2355A
	v_mfma_f32_16x16x32_fp8_fp8 v[112:115], a[92:93], a[28:29], v[112:115]// 000000008B50: D3F30070 1DC2395C
	ds_read_b128 a[8:11], v2 offset:6784                       // 000000008B58: DBFE1A80 08000002
	ds_read_b128 a[12:15], v2 offset:6848                      // 000000008B60: DBFE1AC0 0C000002
	v_mfma_f32_16x16x32_fp8_fp8 v[112:115], a[94:95], a[30:31], v[112:115]// 000000008B68: D3F30070 1DC23D5E
	v_mfma_f32_16x16x32_fp8_fp8 v[124:127], a[96:97], a[24:25], v[124:127]// 000000008B70: D3F3007C 1DF23160
	buffer_load_dwordx4 a[56:59], v49, s[84:87], 0 offen       // 000000008B78: E05C1000 80953831
	v_mfma_f32_16x16x32_fp8_fp8 v[124:127], a[98:99], a[26:27], v[124:127]// 000000008B80: D3F3007C 1DF23562
	v_mfma_f32_16x16x32_fp8_fp8 v[124:127], a[100:101], a[28:29], v[124:127]// 000000008B88: D3F3007C 1DF23964
	ds_read_b128 a[16:19], v2 offset:7296                      // 000000008B90: DBFE1C80 10000002
	ds_read_b128 a[20:23], v2 offset:7360                      // 000000008B98: DBFE1CC0 14000002
	v_mfma_f32_16x16x32_fp8_fp8 v[124:127], a[102:103], a[30:31], v[124:127]// 000000008BA0: D3F3007C 1DF23D66
	v_mfma_f32_16x16x32_fp8_fp8 v[136:139], a[104:105], a[24:25], v[136:139]// 000000008BA8: D3F30088 1E223168
	buffer_load_dwordx4 a[60:63], v49, s[84:87], 0 offen offset:1024// 000000008BB0: E05C1400 80953C31
	v_mfma_f32_16x16x32_fp8_fp8 v[136:139], a[106:107], a[26:27], v[136:139]// 000000008BB8: D3F30088 1E22356A
	v_mfma_f32_16x16x32_fp8_fp8 v[136:139], a[108:109], a[28:29], v[136:139]// 000000008BC0: D3F30088 1E22396C
	v_mfma_f32_16x16x32_fp8_fp8 v[136:139], a[110:111], a[30:31], v[136:139]// 000000008BC8: D3F30088 1E223D6E
	v_mfma_f32_16x16x32_fp8_fp8 v[104:107], a[80:81], a[32:33], v[104:107]// 000000008BD0: D3F30068 1DA24150
	buffer_load_dwordx4 a[64:67], v50, s[84:87], 0 offen       // 000000008BD8: E05C1000 80954032
	v_mfma_f32_16x16x32_fp8_fp8 v[104:107], a[82:83], a[34:35], v[104:107]// 000000008BE0: D3F30068 1DA24552
	v_mfma_f32_16x16x32_fp8_fp8 v[104:107], a[84:85], a[36:37], v[104:107]// 000000008BE8: D3F30068 1DA24954
	v_mfma_f32_16x16x32_fp8_fp8 v[104:107], a[86:87], a[38:39], v[104:107]// 000000008BF0: D3F30068 1DA24D56
	v_mfma_f32_16x16x32_fp8_fp8 v[116:119], a[88:89], a[32:33], v[116:119]// 000000008BF8: D3F30074 1DD24158
	buffer_load_dwordx4 a[68:71], v50, s[84:87], 0 offen offset:1024// 000000008C00: E05C1400 80954432
	v_mfma_f32_16x16x32_fp8_fp8 v[116:119], a[90:91], a[34:35], v[116:119]// 000000008C08: D3F30074 1DD2455A
	v_mfma_f32_16x16x32_fp8_fp8 v[116:119], a[92:93], a[36:37], v[116:119]// 000000008C10: D3F30074 1DD2495C
	v_mfma_f32_16x16x32_fp8_fp8 v[116:119], a[94:95], a[38:39], v[116:119]// 000000008C18: D3F30074 1DD24D5E
	v_mfma_f32_16x16x32_fp8_fp8 v[128:131], a[96:97], a[32:33], v[128:131]// 000000008C20: D3F30080 1E024160
	buffer_load_dwordx4 a[72:75], v51, s[84:87], 0 offen       // 000000008C28: E05C1000 80954833
	v_mfma_f32_16x16x32_fp8_fp8 v[128:131], a[98:99], a[34:35], v[128:131]// 000000008C30: D3F30080 1E024562
	v_mfma_f32_16x16x32_fp8_fp8 v[128:131], a[100:101], a[36:37], v[128:131]// 000000008C38: D3F30080 1E024964
	v_mfma_f32_16x16x32_fp8_fp8 v[128:131], a[102:103], a[38:39], v[128:131]// 000000008C40: D3F30080 1E024D66
	v_mfma_f32_16x16x32_fp8_fp8 v[140:143], a[104:105], a[32:33], v[140:143]// 000000008C48: D3F3008C 1E324168
	buffer_load_dwordx4 a[76:79], v51, s[84:87], 0 offen offset:1024// 000000008C50: E05C1400 80954C33
	v_mfma_f32_16x16x32_fp8_fp8 v[140:143], a[106:107], a[34:35], v[140:143]// 000000008C58: D3F3008C 1E32456A
	v_mfma_f32_16x16x32_fp8_fp8 v[140:143], a[108:109], a[36:37], v[140:143]// 000000008C60: D3F3008C 1E32496C
	v_mfma_f32_16x16x32_fp8_fp8 v[140:143], a[110:111], a[38:39], v[140:143]// 000000008C68: D3F3008C 1E324D6E
	v_mfma_f32_16x16x32_fp8_fp8 v[108:111], a[80:81], a[40:41], v[108:111]// 000000008C70: D3F3006C 1DB25150
	v_mfma_f32_16x16x32_fp8_fp8 v[108:111], a[82:83], a[42:43], v[108:111]// 000000008C78: D3F3006C 1DB25552
	v_mfma_f32_16x16x32_fp8_fp8 v[108:111], a[84:85], a[44:45], v[108:111]// 000000008C80: D3F3006C 1DB25954
	v_mfma_f32_16x16x32_fp8_fp8 v[108:111], a[86:87], a[46:47], v[108:111]// 000000008C88: D3F3006C 1DB25D56
	v_mfma_f32_16x16x32_fp8_fp8 v[120:123], a[88:89], a[40:41], v[120:123]// 000000008C90: D3F30078 1DE25158
	v_mfma_f32_16x16x32_fp8_fp8 v[120:123], a[90:91], a[42:43], v[120:123]// 000000008C98: D3F30078 1DE2555A
	v_mfma_f32_16x16x32_fp8_fp8 v[120:123], a[92:93], a[44:45], v[120:123]// 000000008CA0: D3F30078 1DE2595C
	v_mfma_f32_16x16x32_fp8_fp8 v[120:123], a[94:95], a[46:47], v[120:123]// 000000008CA8: D3F30078 1DE25D5E
	v_mfma_f32_16x16x32_fp8_fp8 v[132:135], a[96:97], a[40:41], v[132:135]// 000000008CB0: D3F30084 1E125160
	s_add_u32 s60, 0x180, s80                                  // 000000008CB8: 803C50FF 00000180
	s_cmp_lt_u32 s60, s81                                      // 000000008CC0: BF0A513C
	s_cselect_b32 s57, s57, 0                                  // 000000008CC4: 85398039
	v_mfma_f32_16x16x32_fp8_fp8 v[132:135], a[98:99], a[42:43], v[132:135]// 000000008CC8: D3F30084 1E125562
	s_add_u32 s60, 0x100, s80                                  // 000000008CD0: 803C50FF 00000100
	s_cmp_lt_u32 s60, s81                                      // 000000008CD8: BF0A513C
	s_cselect_b32 s58, s58, 0                                  // 000000008CDC: 853A803A
	v_mfma_f32_16x16x32_fp8_fp8 v[132:135], a[100:101], a[44:45], v[132:135]// 000000008CE0: D3F30084 1E125964
	s_add_u32 s60, 0x100, s80                                  // 000000008CE8: 803C50FF 00000100
	s_cmp_lt_u32 s60, s81                                      // 000000008CF0: BF0A513C
	s_cselect_b32 s83, s83, 0                                  // 000000008CF4: 85538053
	v_mfma_f32_16x16x32_fp8_fp8 v[132:135], a[102:103], a[46:47], v[132:135]// 000000008CF8: D3F30084 1E125D66
	s_add_u32 s24, s58, s24                                    // 000000008D00: 8018183A
	s_addc_u32 s25, 0, s25                                     // 000000008D04: 82191980
	v_mfma_f32_16x16x32_fp8_fp8 v[144:147], a[104:105], a[40:41], v[144:147]// 000000008D08: D3F30090 1E425168
	s_add_u32 s20, s57, s20                                    // 000000008D10: 80141439
	s_addc_u32 s21, 0, s21                                     // 000000008D14: 82151580
	v_mfma_f32_16x16x32_fp8_fp8 v[144:147], a[106:107], a[42:43], v[144:147]// 000000008D18: D3F30090 1E42556A
	s_add_u32 s84, s83, s84                                    // 000000008D20: 80545453
	s_addc_u32 s85, 0, s85                                     // 000000008D24: 82555580
	v_mfma_f32_16x16x32_fp8_fp8 v[144:147], a[108:109], a[44:45], v[144:147]// 000000008D28: D3F30090 1E42596C
	v_mfma_f32_16x16x32_fp8_fp8 v[144:147], a[110:111], a[46:47], v[144:147]// 000000008D30: D3F30090 1E425D6E
	s_addk_i32 s80, 0x80                                       // 000000008D38: B7500080
	s_cmp_lt_i32 s80, s81                                      // 000000008D3C: BF045150
	s_cbranch_scc0 label_1B0B                                  // 000000008D40: BF840237
	s_waitcnt vmcnt(14) lgkmcnt(0)                             // 000000008D44: BF8C007E
	v_mfma_f32_16x16x32_fp8_fp8 v[52:55], a[112:113], a[0:1], v[52:55]// 000000008D48: D3F30034 1CD20170
	buffer_load_dwordx4 a[80:83], v48, s[24:27], 0 offen       // 000000008D50: E05C1000 80865030
	v_mfma_f32_16x16x32_fp8_fp8 v[52:55], a[114:115], a[2:3], v[52:55]// 000000008D58: D3F30034 1CD20572
	v_mfma_f32_16x16x32_fp8_fp8 v[52:55], a[116:117], a[4:5], v[52:55]// 000000008D60: D3F30034 1CD20974
	v_mfma_f32_16x16x32_fp8_fp8 v[52:55], a[118:119], a[6:7], v[52:55]// 000000008D68: D3F30034 1CD20D76
	v_mfma_f32_16x16x32_fp8_fp8 v[64:67], a[120:121], a[0:1], v[64:67]// 000000008D70: D3F30040 1D020178
	buffer_load_dwordx4 a[84:87], v48, s[24:27], 0 offen offset:1024// 000000008D78: E05C1400 80865430
	v_mfma_f32_16x16x32_fp8_fp8 v[64:67], a[122:123], a[2:3], v[64:67]// 000000008D80: D3F30040 1D02057A
	v_mfma_f32_16x16x32_fp8_fp8 v[64:67], a[124:125], a[4:5], v[64:67]// 000000008D88: D3F30040 1D02097C
	v_mfma_f32_16x16x32_fp8_fp8 v[64:67], a[126:127], a[6:7], v[64:67]// 000000008D90: D3F30040 1D020D7E
	v_mfma_f32_16x16x32_fp8_fp8 v[76:79], a[128:129], a[0:1], v[76:79]// 000000008D98: D3F3004C 1D320180
	buffer_load_dwordx4 a[88:91], v49, s[24:27], 0 offen       // 000000008DA0: E05C1000 80865831
	v_mfma_f32_16x16x32_fp8_fp8 v[76:79], a[130:131], a[2:3], v[76:79]// 000000008DA8: D3F3004C 1D320582
	v_mfma_f32_16x16x32_fp8_fp8 v[76:79], a[132:133], a[4:5], v[76:79]// 000000008DB0: D3F3004C 1D320984
	v_mfma_f32_16x16x32_fp8_fp8 v[76:79], a[134:135], a[6:7], v[76:79]// 000000008DB8: D3F3004C 1D320D86
	v_mfma_f32_16x16x32_fp8_fp8 v[88:91], a[136:137], a[0:1], v[88:91]// 000000008DC0: D3F30058 1D620188
	buffer_load_dwordx4 a[92:95], v49, s[24:27], 0 offen offset:1024// 000000008DC8: E05C1400 80865C31
	v_mfma_f32_16x16x32_fp8_fp8 v[88:91], a[138:139], a[2:3], v[88:91]// 000000008DD0: D3F30058 1D62058A
	v_mfma_f32_16x16x32_fp8_fp8 v[88:91], a[140:141], a[4:5], v[88:91]// 000000008DD8: D3F30058 1D62098C
	v_mfma_f32_16x16x32_fp8_fp8 v[88:91], a[142:143], a[6:7], v[88:91]// 000000008DE0: D3F30058 1D620D8E
	v_mfma_f32_16x16x32_fp8_fp8 v[56:59], a[112:113], a[8:9], v[56:59]// 000000008DE8: D3F30038 1CE21170
	buffer_load_dwordx4 a[96:99], v50, s[24:27], 0 offen       // 000000008DF0: E05C1000 80866032
	v_mfma_f32_16x16x32_fp8_fp8 v[56:59], a[114:115], a[10:11], v[56:59]// 000000008DF8: D3F30038 1CE21572
	v_mfma_f32_16x16x32_fp8_fp8 v[56:59], a[116:117], a[12:13], v[56:59]// 000000008E00: D3F30038 1CE21974
	v_mfma_f32_16x16x32_fp8_fp8 v[56:59], a[118:119], a[14:15], v[56:59]// 000000008E08: D3F30038 1CE21D76
	v_mfma_f32_16x16x32_fp8_fp8 v[68:71], a[120:121], a[8:9], v[68:71]// 000000008E10: D3F30044 1D121178
	buffer_load_dwordx4 a[100:103], v50, s[24:27], 0 offen offset:1024// 000000008E18: E05C1400 80866432
	v_mfma_f32_16x16x32_fp8_fp8 v[68:71], a[122:123], a[10:11], v[68:71]// 000000008E20: D3F30044 1D12157A
	v_mfma_f32_16x16x32_fp8_fp8 v[68:71], a[124:125], a[12:13], v[68:71]// 000000008E28: D3F30044 1D12197C
	v_mfma_f32_16x16x32_fp8_fp8 v[68:71], a[126:127], a[14:15], v[68:71]// 000000008E30: D3F30044 1D121D7E
	v_mfma_f32_16x16x32_fp8_fp8 v[80:83], a[128:129], a[8:9], v[80:83]// 000000008E38: D3F30050 1D421180
	buffer_load_dwordx4 a[104:107], v51, s[24:27], 0 offen     // 000000008E40: E05C1000 80866833
	v_mfma_f32_16x16x32_fp8_fp8 v[80:83], a[130:131], a[10:11], v[80:83]// 000000008E48: D3F30050 1D421582
	v_mfma_f32_16x16x32_fp8_fp8 v[80:83], a[132:133], a[12:13], v[80:83]// 000000008E50: D3F30050 1D421984
	v_mfma_f32_16x16x32_fp8_fp8 v[80:83], a[134:135], a[14:15], v[80:83]// 000000008E58: D3F30050 1D421D86
	v_mfma_f32_16x16x32_fp8_fp8 v[92:95], a[136:137], a[8:9], v[92:95]// 000000008E60: D3F3005C 1D721188
	buffer_load_dwordx4 a[108:111], v51, s[24:27], 0 offen offset:1024// 000000008E68: E05C1400 80866C33
	buffer_load_dword v42, s[20:23], 0 offen lds               // 000000008E70: E0511000 8005002A
	s_add_u32 m0, 0x100, s48                                   // 000000008E78: 807C30FF 00000100
	v_mfma_f32_16x16x32_fp8_fp8 v[92:95], a[138:139], a[10:11], v[92:95]// 000000008E80: D3F3005C 1D72158A
	v_mfma_f32_16x16x32_fp8_fp8 v[92:95], a[140:141], a[12:13], v[92:95]// 000000008E88: D3F3005C 1D72198C
	buffer_load_dword v43, s[20:23], 0 offen lds               // 000000008E90: E0511000 8005002B
	s_add_u32 m0, 0x200, s48                                   // 000000008E98: 807C30FF 00000200
	v_mfma_f32_16x16x32_fp8_fp8 v[92:95], a[142:143], a[14:15], v[92:95]// 000000008EA0: D3F3005C 1D721D8E
	v_mfma_f32_16x16x32_fp8_fp8 v[60:63], a[112:113], a[16:17], v[60:63]// 000000008EA8: D3F3003C 1CF22170
	buffer_load_dword v44, s[20:23], 0 offen lds               // 000000008EB0: E0511000 8005002C
	s_add_u32 m0, 0x300, s48                                   // 000000008EB8: 807C30FF 00000300
	v_mfma_f32_16x16x32_fp8_fp8 v[60:63], a[114:115], a[18:19], v[60:63]// 000000008EC0: D3F3003C 1CF22572
	v_mfma_f32_16x16x32_fp8_fp8 v[60:63], a[116:117], a[20:21], v[60:63]// 000000008EC8: D3F3003C 1CF22974
	buffer_load_dword v45, s[20:23], 0 offen lds               // 000000008ED0: E0511000 8005002D
	s_add_u32 m0, 0x400, s48                                   // 000000008ED8: 807C30FF 00000400
	v_mfma_f32_16x16x32_fp8_fp8 v[60:63], a[118:119], a[22:23], v[60:63]// 000000008EE0: D3F3003C 1CF22D76
	v_mfma_f32_16x16x32_fp8_fp8 v[72:75], a[120:121], a[16:17], v[72:75]// 000000008EE8: D3F30048 1D222178
	buffer_load_dword v46, s[20:23], 0 offen lds               // 000000008EF0: E0511000 8005002E
	s_add_u32 m0, 0x500, s48                                   // 000000008EF8: 807C30FF 00000500
	v_mfma_f32_16x16x32_fp8_fp8 v[72:75], a[122:123], a[18:19], v[72:75]// 000000008F00: D3F30048 1D22257A
	v_mfma_f32_16x16x32_fp8_fp8 v[72:75], a[124:125], a[20:21], v[72:75]// 000000008F08: D3F30048 1D22297C
	buffer_load_dword v47, s[20:23], 0 offen lds               // 000000008F10: E0511000 8005002F
	s_add_u32 m0, 0, s49                                       // 000000008F18: 807C3180
	v_mfma_f32_16x16x32_fp8_fp8 v[72:75], a[126:127], a[22:23], v[72:75]// 000000008F1C: D3F30048 1D222D7E
	v_mfma_f32_16x16x32_fp8_fp8 v[84:87], a[128:129], a[16:17], v[84:87]// 000000008F24: D3F30054 1D522180
	v_mfma_f32_16x16x32_fp8_fp8 v[84:87], a[130:131], a[18:19], v[84:87]// 000000008F2C: D3F30054 1D522582
	v_mfma_f32_16x16x32_fp8_fp8 v[84:87], a[132:133], a[20:21], v[84:87]// 000000008F34: D3F30054 1D522984
	v_mfma_f32_16x16x32_fp8_fp8 v[84:87], a[134:135], a[22:23], v[84:87]// 000000008F3C: D3F30054 1D522D86
	v_mfma_f32_16x16x32_fp8_fp8 v[96:99], a[136:137], a[16:17], v[96:99]// 000000008F44: D3F30060 1D822188
	v_mfma_f32_16x16x32_fp8_fp8 v[96:99], a[138:139], a[18:19], v[96:99]// 000000008F4C: D3F30060 1D82258A
	v_mfma_f32_16x16x32_fp8_fp8 v[96:99], a[140:141], a[20:21], v[96:99]// 000000008F54: D3F30060 1D82298C
	v_mfma_f32_16x16x32_fp8_fp8 v[96:99], a[142:143], a[22:23], v[96:99]// 000000008F5C: D3F30060 1D822D8E
	s_waitcnt vmcnt(14)                                        // 000000008F64: BF8C0F7E
	s_barrier                                                  // 000000008F68: BF8A0000
	v_mfma_f32_16x16x32_fp8_fp8 v[100:103], a[48:49], a[0:1], v[100:103]// 000000008F6C: D3F30064 1D920130
	buffer_load_dwordx4 a[112:115], v48, s[84:87], 0 offen     // 000000008F74: E05C1000 80957030
	v_mfma_f32_16x16x32_fp8_fp8 v[100:103], a[50:51], a[2:3], v[100:103]// 000000008F7C: D3F30064 1D920532
	v_mfma_f32_16x16x32_fp8_fp8 v[100:103], a[52:53], a[4:5], v[100:103]// 000000008F84: D3F30064 1D920934
	ds_read_b128 a[24:27], v2 offset:12544                     // 000000008F8C: DBFE3100 18000002
	ds_read_b128 a[28:31], v2 offset:12608                     // 000000008F94: DBFE3140 1C000002
	v_mfma_f32_16x16x32_fp8_fp8 v[100:103], a[54:55], a[6:7], v[100:103]// 000000008F9C: D3F30064 1D920D36
	v_mfma_f32_16x16x32_fp8_fp8 v[112:115], a[56:57], a[0:1], v[112:115]// 000000008FA4: D3F30070 1DC20138
	buffer_load_dwordx4 a[116:119], v48, s[84:87], 0 offen offset:1024// 000000008FAC: E05C1400 80957430
	v_mfma_f32_16x16x32_fp8_fp8 v[112:115], a[58:59], a[2:3], v[112:115]// 000000008FB4: D3F30070 1DC2053A
	v_mfma_f32_16x16x32_fp8_fp8 v[112:115], a[60:61], a[4:5], v[112:115]// 000000008FBC: D3F30070 1DC2093C
	ds_read_b128 a[32:35], v2 offset:13056                     // 000000008FC4: DBFE3300 20000002
	ds_read_b128 a[36:39], v2 offset:13120                     // 000000008FCC: DBFE3340 24000002
	v_mfma_f32_16x16x32_fp8_fp8 v[112:115], a[62:63], a[6:7], v[112:115]// 000000008FD4: D3F30070 1DC20D3E
	v_mfma_f32_16x16x32_fp8_fp8 v[124:127], a[64:65], a[0:1], v[124:127]// 000000008FDC: D3F3007C 1DF20140
	buffer_load_dwordx4 a[120:123], v49, s[84:87], 0 offen     // 000000008FE4: E05C1000 80957831
	v_mfma_f32_16x16x32_fp8_fp8 v[124:127], a[66:67], a[2:3], v[124:127]// 000000008FEC: D3F3007C 1DF20542
	v_mfma_f32_16x16x32_fp8_fp8 v[124:127], a[68:69], a[4:5], v[124:127]// 000000008FF4: D3F3007C 1DF20944
	ds_read_b128 a[40:43], v2 offset:13568                     // 000000008FFC: DBFE3500 28000002
	ds_read_b128 a[44:47], v2 offset:13632                     // 000000009004: DBFE3540 2C000002
	v_mfma_f32_16x16x32_fp8_fp8 v[124:127], a[70:71], a[6:7], v[124:127]// 00000000900C: D3F3007C 1DF20D46
	v_mfma_f32_16x16x32_fp8_fp8 v[136:139], a[72:73], a[0:1], v[136:139]// 000000009014: D3F30088 1E220148
	buffer_load_dwordx4 a[124:127], v49, s[84:87], 0 offen offset:1024// 00000000901C: E05C1400 80957C31
	v_mfma_f32_16x16x32_fp8_fp8 v[136:139], a[74:75], a[2:3], v[136:139]// 000000009024: D3F30088 1E22054A
	v_mfma_f32_16x16x32_fp8_fp8 v[136:139], a[76:77], a[4:5], v[136:139]// 00000000902C: D3F30088 1E22094C
	v_mfma_f32_16x16x32_fp8_fp8 v[136:139], a[78:79], a[6:7], v[136:139]// 000000009034: D3F30088 1E220D4E
	v_mfma_f32_16x16x32_fp8_fp8 v[104:107], a[48:49], a[8:9], v[104:107]// 00000000903C: D3F30068 1DA21130
	buffer_load_dwordx4 a[128:131], v50, s[84:87], 0 offen     // 000000009044: E05C1000 80958032
	v_mfma_f32_16x16x32_fp8_fp8 v[104:107], a[50:51], a[10:11], v[104:107]// 00000000904C: D3F30068 1DA21532
	v_mfma_f32_16x16x32_fp8_fp8 v[104:107], a[52:53], a[12:13], v[104:107]// 000000009054: D3F30068 1DA21934
	v_mfma_f32_16x16x32_fp8_fp8 v[104:107], a[54:55], a[14:15], v[104:107]// 00000000905C: D3F30068 1DA21D36
	v_mfma_f32_16x16x32_fp8_fp8 v[116:119], a[56:57], a[8:9], v[116:119]// 000000009064: D3F30074 1DD21138
	buffer_load_dwordx4 a[132:135], v50, s[84:87], 0 offen offset:1024// 00000000906C: E05C1400 80958432
	v_mfma_f32_16x16x32_fp8_fp8 v[116:119], a[58:59], a[10:11], v[116:119]// 000000009074: D3F30074 1DD2153A
	v_mfma_f32_16x16x32_fp8_fp8 v[116:119], a[60:61], a[12:13], v[116:119]// 00000000907C: D3F30074 1DD2193C
	v_mfma_f32_16x16x32_fp8_fp8 v[116:119], a[62:63], a[14:15], v[116:119]// 000000009084: D3F30074 1DD21D3E
	v_mfma_f32_16x16x32_fp8_fp8 v[128:131], a[64:65], a[8:9], v[128:131]// 00000000908C: D3F30080 1E021140
	buffer_load_dwordx4 a[136:139], v51, s[84:87], 0 offen     // 000000009094: E05C1000 80958833
	v_mfma_f32_16x16x32_fp8_fp8 v[128:131], a[66:67], a[10:11], v[128:131]// 00000000909C: D3F30080 1E021542
	v_mfma_f32_16x16x32_fp8_fp8 v[128:131], a[68:69], a[12:13], v[128:131]// 0000000090A4: D3F30080 1E021944
	v_mfma_f32_16x16x32_fp8_fp8 v[128:131], a[70:71], a[14:15], v[128:131]// 0000000090AC: D3F30080 1E021D46
	v_mfma_f32_16x16x32_fp8_fp8 v[140:143], a[72:73], a[8:9], v[140:143]// 0000000090B4: D3F3008C 1E321148
	buffer_load_dwordx4 a[140:143], v51, s[84:87], 0 offen offset:1024// 0000000090BC: E05C1400 80958C33
	v_mfma_f32_16x16x32_fp8_fp8 v[140:143], a[74:75], a[10:11], v[140:143]// 0000000090C4: D3F3008C 1E32154A
	v_mfma_f32_16x16x32_fp8_fp8 v[140:143], a[76:77], a[12:13], v[140:143]// 0000000090CC: D3F3008C 1E32194C
	v_mfma_f32_16x16x32_fp8_fp8 v[140:143], a[78:79], a[14:15], v[140:143]// 0000000090D4: D3F3008C 1E321D4E
	v_mfma_f32_16x16x32_fp8_fp8 v[108:111], a[48:49], a[16:17], v[108:111]// 0000000090DC: D3F3006C 1DB22130
	v_mfma_f32_16x16x32_fp8_fp8 v[108:111], a[50:51], a[18:19], v[108:111]// 0000000090E4: D3F3006C 1DB22532
	v_mfma_f32_16x16x32_fp8_fp8 v[108:111], a[52:53], a[20:21], v[108:111]// 0000000090EC: D3F3006C 1DB22934
	v_mfma_f32_16x16x32_fp8_fp8 v[108:111], a[54:55], a[22:23], v[108:111]// 0000000090F4: D3F3006C 1DB22D36
	v_mfma_f32_16x16x32_fp8_fp8 v[120:123], a[56:57], a[16:17], v[120:123]// 0000000090FC: D3F30078 1DE22138
	v_mfma_f32_16x16x32_fp8_fp8 v[120:123], a[58:59], a[18:19], v[120:123]// 000000009104: D3F30078 1DE2253A
	v_mfma_f32_16x16x32_fp8_fp8 v[120:123], a[60:61], a[20:21], v[120:123]// 00000000910C: D3F30078 1DE2293C
	v_mfma_f32_16x16x32_fp8_fp8 v[120:123], a[62:63], a[22:23], v[120:123]// 000000009114: D3F30078 1DE22D3E
	v_mfma_f32_16x16x32_fp8_fp8 v[132:135], a[64:65], a[16:17], v[132:135]// 00000000911C: D3F30084 1E122140
	s_add_u32 s60, 0x180, s80                                  // 000000009124: 803C50FF 00000180
	s_cmp_lt_u32 s60, s81                                      // 00000000912C: BF0A513C
	s_cselect_b32 s57, s57, 0                                  // 000000009130: 85398039
	v_mfma_f32_16x16x32_fp8_fp8 v[132:135], a[66:67], a[18:19], v[132:135]// 000000009134: D3F30084 1E122542
	s_add_u32 s60, 0x100, s80                                  // 00000000913C: 803C50FF 00000100
	s_cmp_lt_u32 s60, s81                                      // 000000009144: BF0A513C
	s_cselect_b32 s58, s58, 0                                  // 000000009148: 853A803A
	v_mfma_f32_16x16x32_fp8_fp8 v[132:135], a[68:69], a[20:21], v[132:135]// 00000000914C: D3F30084 1E122944
	s_add_u32 s60, 0x100, s80                                  // 000000009154: 803C50FF 00000100
	s_cmp_lt_u32 s60, s81                                      // 00000000915C: BF0A513C
	s_cselect_b32 s83, s83, 0                                  // 000000009160: 85538053
	v_mfma_f32_16x16x32_fp8_fp8 v[132:135], a[70:71], a[22:23], v[132:135]// 000000009164: D3F30084 1E122D46
	s_add_u32 s24, s58, s24                                    // 00000000916C: 8018183A
	s_addc_u32 s25, 0, s25                                     // 000000009170: 82191980
	v_mfma_f32_16x16x32_fp8_fp8 v[144:147], a[72:73], a[16:17], v[144:147]// 000000009174: D3F30090 1E422148
	s_add_u32 s20, s57, s20                                    // 00000000917C: 80141439
	s_addc_u32 s21, 0, s21                                     // 000000009180: 82151580
	v_mfma_f32_16x16x32_fp8_fp8 v[144:147], a[74:75], a[18:19], v[144:147]// 000000009184: D3F30090 1E42254A
	s_add_u32 s84, s83, s84                                    // 00000000918C: 80545453
	s_addc_u32 s85, 0, s85                                     // 000000009190: 82555580
	v_mfma_f32_16x16x32_fp8_fp8 v[144:147], a[76:77], a[20:21], v[144:147]// 000000009194: D3F30090 1E42294C
	v_mfma_f32_16x16x32_fp8_fp8 v[144:147], a[78:79], a[22:23], v[144:147]// 00000000919C: D3F30090 1E422D4E
	s_addk_i32 s80, 0x80                                       // 0000000091A4: B7500080
	s_cmp_lt_i32 s80, s81                                      // 0000000091A8: BF045150
	s_cbranch_scc0 label_1B0B                                  // 0000000091AC: BF84011C
	s_waitcnt vmcnt(14) lgkmcnt(0)                             // 0000000091B0: BF8C007E
	v_mfma_f32_16x16x32_fp8_fp8 v[52:55], a[80:81], a[24:25], v[52:55]// 0000000091B4: D3F30034 1CD23150
	buffer_load_dwordx4 a[48:51], v48, s[24:27], 0 offen       // 0000000091BC: E05C1000 80863030
	v_mfma_f32_16x16x32_fp8_fp8 v[52:55], a[82:83], a[26:27], v[52:55]// 0000000091C4: D3F30034 1CD23552
	v_mfma_f32_16x16x32_fp8_fp8 v[52:55], a[84:85], a[28:29], v[52:55]// 0000000091CC: D3F30034 1CD23954
	v_mfma_f32_16x16x32_fp8_fp8 v[52:55], a[86:87], a[30:31], v[52:55]// 0000000091D4: D3F30034 1CD23D56
	v_mfma_f32_16x16x32_fp8_fp8 v[64:67], a[88:89], a[24:25], v[64:67]// 0000000091DC: D3F30040 1D023158
	buffer_load_dwordx4 a[52:55], v48, s[24:27], 0 offen offset:1024// 0000000091E4: E05C1400 80863430
	v_mfma_f32_16x16x32_fp8_fp8 v[64:67], a[90:91], a[26:27], v[64:67]// 0000000091EC: D3F30040 1D02355A
	v_mfma_f32_16x16x32_fp8_fp8 v[64:67], a[92:93], a[28:29], v[64:67]// 0000000091F4: D3F30040 1D02395C
	v_mfma_f32_16x16x32_fp8_fp8 v[64:67], a[94:95], a[30:31], v[64:67]// 0000000091FC: D3F30040 1D023D5E
	v_mfma_f32_16x16x32_fp8_fp8 v[76:79], a[96:97], a[24:25], v[76:79]// 000000009204: D3F3004C 1D323160
	buffer_load_dwordx4 a[56:59], v49, s[24:27], 0 offen       // 00000000920C: E05C1000 80863831
	v_mfma_f32_16x16x32_fp8_fp8 v[76:79], a[98:99], a[26:27], v[76:79]// 000000009214: D3F3004C 1D323562
	v_mfma_f32_16x16x32_fp8_fp8 v[76:79], a[100:101], a[28:29], v[76:79]// 00000000921C: D3F3004C 1D323964
	v_mfma_f32_16x16x32_fp8_fp8 v[76:79], a[102:103], a[30:31], v[76:79]// 000000009224: D3F3004C 1D323D66
	v_mfma_f32_16x16x32_fp8_fp8 v[88:91], a[104:105], a[24:25], v[88:91]// 00000000922C: D3F30058 1D623168
	buffer_load_dwordx4 a[60:63], v49, s[24:27], 0 offen offset:1024// 000000009234: E05C1400 80863C31
	v_mfma_f32_16x16x32_fp8_fp8 v[88:91], a[106:107], a[26:27], v[88:91]// 00000000923C: D3F30058 1D62356A
	v_mfma_f32_16x16x32_fp8_fp8 v[88:91], a[108:109], a[28:29], v[88:91]// 000000009244: D3F30058 1D62396C
	v_mfma_f32_16x16x32_fp8_fp8 v[88:91], a[110:111], a[30:31], v[88:91]// 00000000924C: D3F30058 1D623D6E
	v_mfma_f32_16x16x32_fp8_fp8 v[56:59], a[80:81], a[32:33], v[56:59]// 000000009254: D3F30038 1CE24150
	buffer_load_dwordx4 a[64:67], v50, s[24:27], 0 offen       // 00000000925C: E05C1000 80864032
	v_mfma_f32_16x16x32_fp8_fp8 v[56:59], a[82:83], a[34:35], v[56:59]// 000000009264: D3F30038 1CE24552
	v_mfma_f32_16x16x32_fp8_fp8 v[56:59], a[84:85], a[36:37], v[56:59]// 00000000926C: D3F30038 1CE24954
	v_mfma_f32_16x16x32_fp8_fp8 v[56:59], a[86:87], a[38:39], v[56:59]// 000000009274: D3F30038 1CE24D56
	v_mfma_f32_16x16x32_fp8_fp8 v[68:71], a[88:89], a[32:33], v[68:71]// 00000000927C: D3F30044 1D124158
	buffer_load_dwordx4 a[68:71], v50, s[24:27], 0 offen offset:1024// 000000009284: E05C1400 80864432
	v_mfma_f32_16x16x32_fp8_fp8 v[68:71], a[90:91], a[34:35], v[68:71]// 00000000928C: D3F30044 1D12455A
	v_mfma_f32_16x16x32_fp8_fp8 v[68:71], a[92:93], a[36:37], v[68:71]// 000000009294: D3F30044 1D12495C
	v_mfma_f32_16x16x32_fp8_fp8 v[68:71], a[94:95], a[38:39], v[68:71]// 00000000929C: D3F30044 1D124D5E
	v_mfma_f32_16x16x32_fp8_fp8 v[80:83], a[96:97], a[32:33], v[80:83]// 0000000092A4: D3F30050 1D424160
	buffer_load_dwordx4 a[72:75], v51, s[24:27], 0 offen       // 0000000092AC: E05C1000 80864833
	v_mfma_f32_16x16x32_fp8_fp8 v[80:83], a[98:99], a[34:35], v[80:83]// 0000000092B4: D3F30050 1D424562
	v_mfma_f32_16x16x32_fp8_fp8 v[80:83], a[100:101], a[36:37], v[80:83]// 0000000092BC: D3F30050 1D424964
	v_mfma_f32_16x16x32_fp8_fp8 v[80:83], a[102:103], a[38:39], v[80:83]// 0000000092C4: D3F30050 1D424D66
	v_mfma_f32_16x16x32_fp8_fp8 v[92:95], a[104:105], a[32:33], v[92:95]// 0000000092CC: D3F3005C 1D724168
	buffer_load_dwordx4 a[76:79], v51, s[24:27], 0 offen offset:1024// 0000000092D4: E05C1400 80864C33
	buffer_load_dword v42, s[20:23], 0 offen lds               // 0000000092DC: E0511000 8005002A
	s_add_u32 m0, 0x100, s49                                   // 0000000092E4: 807C31FF 00000100
	v_mfma_f32_16x16x32_fp8_fp8 v[92:95], a[106:107], a[34:35], v[92:95]// 0000000092EC: D3F3005C 1D72456A
	v_mfma_f32_16x16x32_fp8_fp8 v[92:95], a[108:109], a[36:37], v[92:95]// 0000000092F4: D3F3005C 1D72496C
	buffer_load_dword v43, s[20:23], 0 offen lds               // 0000000092FC: E0511000 8005002B
	s_add_u32 m0, 0x200, s49                                   // 000000009304: 807C31FF 00000200
	v_mfma_f32_16x16x32_fp8_fp8 v[92:95], a[110:111], a[38:39], v[92:95]// 00000000930C: D3F3005C 1D724D6E
	v_mfma_f32_16x16x32_fp8_fp8 v[60:63], a[80:81], a[40:41], v[60:63]// 000000009314: D3F3003C 1CF25150
	buffer_load_dword v44, s[20:23], 0 offen lds               // 00000000931C: E0511000 8005002C
	s_add_u32 m0, 0x300, s49                                   // 000000009324: 807C31FF 00000300
	v_mfma_f32_16x16x32_fp8_fp8 v[60:63], a[82:83], a[42:43], v[60:63]// 00000000932C: D3F3003C 1CF25552
	v_mfma_f32_16x16x32_fp8_fp8 v[60:63], a[84:85], a[44:45], v[60:63]// 000000009334: D3F3003C 1CF25954
	buffer_load_dword v45, s[20:23], 0 offen lds               // 00000000933C: E0511000 8005002D
	s_add_u32 m0, 0x400, s49                                   // 000000009344: 807C31FF 00000400
	v_mfma_f32_16x16x32_fp8_fp8 v[60:63], a[86:87], a[46:47], v[60:63]// 00000000934C: D3F3003C 1CF25D56
	v_mfma_f32_16x16x32_fp8_fp8 v[72:75], a[88:89], a[40:41], v[72:75]// 000000009354: D3F30048 1D225158
	buffer_load_dword v46, s[20:23], 0 offen lds               // 00000000935C: E0511000 8005002E
	s_add_u32 m0, 0x500, s49                                   // 000000009364: 807C31FF 00000500
	v_mfma_f32_16x16x32_fp8_fp8 v[72:75], a[90:91], a[42:43], v[72:75]// 00000000936C: D3F30048 1D22555A
	v_mfma_f32_16x16x32_fp8_fp8 v[72:75], a[92:93], a[44:45], v[72:75]// 000000009374: D3F30048 1D22595C
	buffer_load_dword v47, s[20:23], 0 offen lds               // 00000000937C: E0511000 8005002F
	s_add_u32 m0, 0, s50                                       // 000000009384: 807C3280
	v_mfma_f32_16x16x32_fp8_fp8 v[72:75], a[94:95], a[46:47], v[72:75]// 000000009388: D3F30048 1D225D5E
	v_mfma_f32_16x16x32_fp8_fp8 v[84:87], a[96:97], a[40:41], v[84:87]// 000000009390: D3F30054 1D525160
	v_mfma_f32_16x16x32_fp8_fp8 v[84:87], a[98:99], a[42:43], v[84:87]// 000000009398: D3F30054 1D525562
	v_mfma_f32_16x16x32_fp8_fp8 v[84:87], a[100:101], a[44:45], v[84:87]// 0000000093A0: D3F30054 1D525964
	v_mfma_f32_16x16x32_fp8_fp8 v[84:87], a[102:103], a[46:47], v[84:87]// 0000000093A8: D3F30054 1D525D66
	v_mfma_f32_16x16x32_fp8_fp8 v[96:99], a[104:105], a[40:41], v[96:99]// 0000000093B0: D3F30060 1D825168
	v_mfma_f32_16x16x32_fp8_fp8 v[96:99], a[106:107], a[42:43], v[96:99]// 0000000093B8: D3F30060 1D82556A
	v_mfma_f32_16x16x32_fp8_fp8 v[96:99], a[108:109], a[44:45], v[96:99]// 0000000093C0: D3F30060 1D82596C
	v_mfma_f32_16x16x32_fp8_fp8 v[96:99], a[110:111], a[46:47], v[96:99]// 0000000093C8: D3F30060 1D825D6E
	s_waitcnt vmcnt(14)                                        // 0000000093D0: BF8C0F7E
	s_barrier                                                  // 0000000093D4: BF8A0000
	v_mfma_f32_16x16x32_fp8_fp8 v[100:103], a[112:113], a[24:25], v[100:103]// 0000000093D8: D3F30064 1D923170
	buffer_load_dwordx4 a[80:83], v48, s[84:87], 0 offen       // 0000000093E0: E05C1000 80955030
	v_mfma_f32_16x16x32_fp8_fp8 v[100:103], a[114:115], a[26:27], v[100:103]// 0000000093E8: D3F30064 1D923572
	v_mfma_f32_16x16x32_fp8_fp8 v[100:103], a[116:117], a[28:29], v[100:103]// 0000000093F0: D3F30064 1D923974
	ds_read_b128 a[0:3], v2                                    // 0000000093F8: DBFE0000 00000002
	ds_read_b128 a[4:7], v2 offset:64                          // 000000009400: DBFE0040 04000002
	v_mfma_f32_16x16x32_fp8_fp8 v[100:103], a[118:119], a[30:31], v[100:103]// 000000009408: D3F30064 1D923D76
	v_mfma_f32_16x16x32_fp8_fp8 v[112:115], a[120:121], a[24:25], v[112:115]// 000000009410: D3F30070 1DC23178
	buffer_load_dwordx4 a[84:87], v48, s[84:87], 0 offen offset:1024// 000000009418: E05C1400 80955430
	v_mfma_f32_16x16x32_fp8_fp8 v[112:115], a[122:123], a[26:27], v[112:115]// 000000009420: D3F30070 1DC2357A
	v_mfma_f32_16x16x32_fp8_fp8 v[112:115], a[124:125], a[28:29], v[112:115]// 000000009428: D3F30070 1DC2397C
	ds_read_b128 a[8:11], v2 offset:512                        // 000000009430: DBFE0200 08000002
	ds_read_b128 a[12:15], v2 offset:576                       // 000000009438: DBFE0240 0C000002
	v_mfma_f32_16x16x32_fp8_fp8 v[112:115], a[126:127], a[30:31], v[112:115]// 000000009440: D3F30070 1DC23D7E
	v_mfma_f32_16x16x32_fp8_fp8 v[124:127], a[128:129], a[24:25], v[124:127]// 000000009448: D3F3007C 1DF23180
	buffer_load_dwordx4 a[88:91], v49, s[84:87], 0 offen       // 000000009450: E05C1000 80955831
	v_mfma_f32_16x16x32_fp8_fp8 v[124:127], a[130:131], a[26:27], v[124:127]// 000000009458: D3F3007C 1DF23582
	v_mfma_f32_16x16x32_fp8_fp8 v[124:127], a[132:133], a[28:29], v[124:127]// 000000009460: D3F3007C 1DF23984
	ds_read_b128 a[16:19], v2 offset:1024                      // 000000009468: DBFE0400 10000002
	ds_read_b128 a[20:23], v2 offset:1088                      // 000000009470: DBFE0440 14000002
	v_mfma_f32_16x16x32_fp8_fp8 v[124:127], a[134:135], a[30:31], v[124:127]// 000000009478: D3F3007C 1DF23D86
	v_mfma_f32_16x16x32_fp8_fp8 v[136:139], a[136:137], a[24:25], v[136:139]// 000000009480: D3F30088 1E223188
	buffer_load_dwordx4 a[92:95], v49, s[84:87], 0 offen offset:1024// 000000009488: E05C1400 80955C31
	v_mfma_f32_16x16x32_fp8_fp8 v[136:139], a[138:139], a[26:27], v[136:139]// 000000009490: D3F30088 1E22358A
	v_mfma_f32_16x16x32_fp8_fp8 v[136:139], a[140:141], a[28:29], v[136:139]// 000000009498: D3F30088 1E22398C
	v_mfma_f32_16x16x32_fp8_fp8 v[136:139], a[142:143], a[30:31], v[136:139]// 0000000094A0: D3F30088 1E223D8E
	v_mfma_f32_16x16x32_fp8_fp8 v[104:107], a[112:113], a[32:33], v[104:107]// 0000000094A8: D3F30068 1DA24170
	buffer_load_dwordx4 a[96:99], v50, s[84:87], 0 offen       // 0000000094B0: E05C1000 80956032
	v_mfma_f32_16x16x32_fp8_fp8 v[104:107], a[114:115], a[34:35], v[104:107]// 0000000094B8: D3F30068 1DA24572
	v_mfma_f32_16x16x32_fp8_fp8 v[104:107], a[116:117], a[36:37], v[104:107]// 0000000094C0: D3F30068 1DA24974
	v_mfma_f32_16x16x32_fp8_fp8 v[104:107], a[118:119], a[38:39], v[104:107]// 0000000094C8: D3F30068 1DA24D76
	v_mfma_f32_16x16x32_fp8_fp8 v[116:119], a[120:121], a[32:33], v[116:119]// 0000000094D0: D3F30074 1DD24178
	buffer_load_dwordx4 a[100:103], v50, s[84:87], 0 offen offset:1024// 0000000094D8: E05C1400 80956432
	v_mfma_f32_16x16x32_fp8_fp8 v[116:119], a[122:123], a[34:35], v[116:119]// 0000000094E0: D3F30074 1DD2457A
	v_mfma_f32_16x16x32_fp8_fp8 v[116:119], a[124:125], a[36:37], v[116:119]// 0000000094E8: D3F30074 1DD2497C
	v_mfma_f32_16x16x32_fp8_fp8 v[116:119], a[126:127], a[38:39], v[116:119]// 0000000094F0: D3F30074 1DD24D7E
	v_mfma_f32_16x16x32_fp8_fp8 v[128:131], a[128:129], a[32:33], v[128:131]// 0000000094F8: D3F30080 1E024180
	buffer_load_dwordx4 a[104:107], v51, s[84:87], 0 offen     // 000000009500: E05C1000 80956833
	v_mfma_f32_16x16x32_fp8_fp8 v[128:131], a[130:131], a[34:35], v[128:131]// 000000009508: D3F30080 1E024582
	v_mfma_f32_16x16x32_fp8_fp8 v[128:131], a[132:133], a[36:37], v[128:131]// 000000009510: D3F30080 1E024984
	v_mfma_f32_16x16x32_fp8_fp8 v[128:131], a[134:135], a[38:39], v[128:131]// 000000009518: D3F30080 1E024D86
	v_mfma_f32_16x16x32_fp8_fp8 v[140:143], a[136:137], a[32:33], v[140:143]// 000000009520: D3F3008C 1E324188
	buffer_load_dwordx4 a[108:111], v51, s[84:87], 0 offen offset:1024// 000000009528: E05C1400 80956C33
	v_mfma_f32_16x16x32_fp8_fp8 v[140:143], a[138:139], a[34:35], v[140:143]// 000000009530: D3F3008C 1E32458A
	v_mfma_f32_16x16x32_fp8_fp8 v[140:143], a[140:141], a[36:37], v[140:143]// 000000009538: D3F3008C 1E32498C
	v_mfma_f32_16x16x32_fp8_fp8 v[140:143], a[142:143], a[38:39], v[140:143]// 000000009540: D3F3008C 1E324D8E
	v_mfma_f32_16x16x32_fp8_fp8 v[108:111], a[112:113], a[40:41], v[108:111]// 000000009548: D3F3006C 1DB25170
	v_mfma_f32_16x16x32_fp8_fp8 v[108:111], a[114:115], a[42:43], v[108:111]// 000000009550: D3F3006C 1DB25572
	v_mfma_f32_16x16x32_fp8_fp8 v[108:111], a[116:117], a[44:45], v[108:111]// 000000009558: D3F3006C 1DB25974
	v_mfma_f32_16x16x32_fp8_fp8 v[108:111], a[118:119], a[46:47], v[108:111]// 000000009560: D3F3006C 1DB25D76
	v_mfma_f32_16x16x32_fp8_fp8 v[120:123], a[120:121], a[40:41], v[120:123]// 000000009568: D3F30078 1DE25178
	v_mfma_f32_16x16x32_fp8_fp8 v[120:123], a[122:123], a[42:43], v[120:123]// 000000009570: D3F30078 1DE2557A
	v_mfma_f32_16x16x32_fp8_fp8 v[120:123], a[124:125], a[44:45], v[120:123]// 000000009578: D3F30078 1DE2597C
	v_mfma_f32_16x16x32_fp8_fp8 v[120:123], a[126:127], a[46:47], v[120:123]// 000000009580: D3F30078 1DE25D7E
	v_mfma_f32_16x16x32_fp8_fp8 v[132:135], a[128:129], a[40:41], v[132:135]// 000000009588: D3F30084 1E125180
	s_add_u32 s60, 0x180, s80                                  // 000000009590: 803C50FF 00000180
	s_cmp_lt_u32 s60, s81                                      // 000000009598: BF0A513C
	s_cselect_b32 s57, s57, 0                                  // 00000000959C: 85398039
	v_mfma_f32_16x16x32_fp8_fp8 v[132:135], a[130:131], a[42:43], v[132:135]// 0000000095A0: D3F30084 1E125582
	s_add_u32 s60, 0x100, s80                                  // 0000000095A8: 803C50FF 00000100
	s_cmp_lt_u32 s60, s81                                      // 0000000095B0: BF0A513C
	s_cselect_b32 s58, s58, 0                                  // 0000000095B4: 853A803A
	v_mfma_f32_16x16x32_fp8_fp8 v[132:135], a[132:133], a[44:45], v[132:135]// 0000000095B8: D3F30084 1E125984
	s_add_u32 s60, 0x100, s80                                  // 0000000095C0: 803C50FF 00000100
	s_cmp_lt_u32 s60, s81                                      // 0000000095C8: BF0A513C
	s_cselect_b32 s83, s83, 0                                  // 0000000095CC: 85538053
	v_mfma_f32_16x16x32_fp8_fp8 v[132:135], a[134:135], a[46:47], v[132:135]// 0000000095D0: D3F30084 1E125D86
	s_add_u32 s24, s58, s24                                    // 0000000095D8: 8018183A
	s_addc_u32 s25, 0, s25                                     // 0000000095DC: 82191980
	v_mfma_f32_16x16x32_fp8_fp8 v[144:147], a[136:137], a[40:41], v[144:147]// 0000000095E0: D3F30090 1E425188
	s_add_u32 s20, s57, s20                                    // 0000000095E8: 80141439
	s_addc_u32 s21, 0, s21                                     // 0000000095EC: 82151580
	v_mfma_f32_16x16x32_fp8_fp8 v[144:147], a[138:139], a[42:43], v[144:147]// 0000000095F0: D3F30090 1E42558A
	s_add_u32 s84, s83, s84                                    // 0000000095F8: 80545453
	s_addc_u32 s85, 0, s85                                     // 0000000095FC: 82555580
	v_mfma_f32_16x16x32_fp8_fp8 v[144:147], a[140:141], a[44:45], v[144:147]// 000000009600: D3F30090 1E42598C
	v_mfma_f32_16x16x32_fp8_fp8 v[144:147], a[142:143], a[46:47], v[144:147]// 000000009608: D3F30090 1E425D8E
	s_addk_i32 s80, 0x80                                       // 000000009610: B7500080
	s_cmp_lt_i32 s80, s81                                      // 000000009614: BF045150
	s_cbranch_scc0 label_1B0B                                  // 000000009618: BF840001
	s_branch label_1468                                        // 00000000961C: BF82F95D

0000000000009620 <label_1B0B>:
	v_mul_f32_dpp v52, v24, v52 row_newbcast:0 row_mask:0xf bank_mask:0xf// 000000009620: 0A6868FA FF015018
	v_mul_f32_dpp v53, v24, v53 row_newbcast:1 row_mask:0xf bank_mask:0xf// 000000009628: 0A6A6AFA FF015118
	v_mul_f32_dpp v54, v24, v54 row_newbcast:2 row_mask:0xf bank_mask:0xf// 000000009630: 0A6C6CFA FF015218
	v_mul_f32_dpp v55, v24, v55 row_newbcast:3 row_mask:0xf bank_mask:0xf// 000000009638: 0A6E6EFA FF015318
	v_mul_f32_dpp v56, v24, v56 row_newbcast:0 row_mask:0xf bank_mask:0xf// 000000009640: 0A7070FA FF015018
	v_mul_f32_dpp v57, v24, v57 row_newbcast:1 row_mask:0xf bank_mask:0xf// 000000009648: 0A7272FA FF015118
	v_mul_f32_dpp v58, v24, v58 row_newbcast:2 row_mask:0xf bank_mask:0xf// 000000009650: 0A7474FA FF015218
	v_mul_f32_dpp v59, v24, v59 row_newbcast:3 row_mask:0xf bank_mask:0xf// 000000009658: 0A7676FA FF015318
	v_mul_f32_dpp v60, v24, v60 row_newbcast:0 row_mask:0xf bank_mask:0xf// 000000009660: 0A7878FA FF015018
	v_mul_f32_dpp v61, v24, v61 row_newbcast:1 row_mask:0xf bank_mask:0xf// 000000009668: 0A7A7AFA FF015118
	v_mul_f32_dpp v62, v24, v62 row_newbcast:2 row_mask:0xf bank_mask:0xf// 000000009670: 0A7C7CFA FF015218
	v_mul_f32_dpp v63, v24, v63 row_newbcast:3 row_mask:0xf bank_mask:0xf// 000000009678: 0A7E7EFA FF015318
	v_mul_f32_dpp v64, v24, v64 row_newbcast:4 row_mask:0xf bank_mask:0xf// 000000009680: 0A8080FA FF015418
	v_mul_f32_dpp v65, v24, v65 row_newbcast:5 row_mask:0xf bank_mask:0xf// 000000009688: 0A8282FA FF015518
	v_mul_f32_dpp v66, v24, v66 row_newbcast:6 row_mask:0xf bank_mask:0xf// 000000009690: 0A8484FA FF015618
	v_mul_f32_dpp v67, v24, v67 row_newbcast:7 row_mask:0xf bank_mask:0xf// 000000009698: 0A8686FA FF015718
	v_mul_f32_dpp v68, v24, v68 row_newbcast:4 row_mask:0xf bank_mask:0xf// 0000000096A0: 0A8888FA FF015418
	v_mul_f32_dpp v69, v24, v69 row_newbcast:5 row_mask:0xf bank_mask:0xf// 0000000096A8: 0A8A8AFA FF015518
	v_mul_f32_dpp v70, v24, v70 row_newbcast:6 row_mask:0xf bank_mask:0xf// 0000000096B0: 0A8C8CFA FF015618
	v_mul_f32_dpp v71, v24, v71 row_newbcast:7 row_mask:0xf bank_mask:0xf// 0000000096B8: 0A8E8EFA FF015718
	v_mul_f32_dpp v72, v24, v72 row_newbcast:4 row_mask:0xf bank_mask:0xf// 0000000096C0: 0A9090FA FF015418
	v_mul_f32_dpp v73, v24, v73 row_newbcast:5 row_mask:0xf bank_mask:0xf// 0000000096C8: 0A9292FA FF015518
	v_mul_f32_dpp v74, v24, v74 row_newbcast:6 row_mask:0xf bank_mask:0xf// 0000000096D0: 0A9494FA FF015618
	v_mul_f32_dpp v75, v24, v75 row_newbcast:7 row_mask:0xf bank_mask:0xf// 0000000096D8: 0A9696FA FF015718
	v_mul_f32_dpp v76, v24, v76 row_newbcast:8 row_mask:0xf bank_mask:0xf// 0000000096E0: 0A9898FA FF015818
	v_mul_f32_dpp v77, v24, v77 row_newbcast:9 row_mask:0xf bank_mask:0xf// 0000000096E8: 0A9A9AFA FF015918
	v_mul_f32_dpp v78, v24, v78 row_newbcast:10 row_mask:0xf bank_mask:0xf// 0000000096F0: 0A9C9CFA FF015A18
	v_mul_f32_dpp v79, v24, v79 row_newbcast:11 row_mask:0xf bank_mask:0xf// 0000000096F8: 0A9E9EFA FF015B18
	v_mul_f32_dpp v80, v24, v80 row_newbcast:8 row_mask:0xf bank_mask:0xf// 000000009700: 0AA0A0FA FF015818
	v_mul_f32_dpp v81, v24, v81 row_newbcast:9 row_mask:0xf bank_mask:0xf// 000000009708: 0AA2A2FA FF015918
	v_mul_f32_dpp v82, v24, v82 row_newbcast:10 row_mask:0xf bank_mask:0xf// 000000009710: 0AA4A4FA FF015A18
	v_mul_f32_dpp v83, v24, v83 row_newbcast:11 row_mask:0xf bank_mask:0xf// 000000009718: 0AA6A6FA FF015B18
	v_mul_f32_dpp v84, v24, v84 row_newbcast:8 row_mask:0xf bank_mask:0xf// 000000009720: 0AA8A8FA FF015818
	v_mul_f32_dpp v85, v24, v85 row_newbcast:9 row_mask:0xf bank_mask:0xf// 000000009728: 0AAAAAFA FF015918
	v_mul_f32_dpp v86, v24, v86 row_newbcast:10 row_mask:0xf bank_mask:0xf// 000000009730: 0AACACFA FF015A18
	v_mul_f32_dpp v87, v24, v87 row_newbcast:11 row_mask:0xf bank_mask:0xf// 000000009738: 0AAEAEFA FF015B18
	v_mul_f32_dpp v88, v24, v88 row_newbcast:12 row_mask:0xf bank_mask:0xf// 000000009740: 0AB0B0FA FF015C18
	v_mul_f32_dpp v89, v24, v89 row_newbcast:13 row_mask:0xf bank_mask:0xf// 000000009748: 0AB2B2FA FF015D18
	v_mul_f32_dpp v90, v24, v90 row_newbcast:14 row_mask:0xf bank_mask:0xf// 000000009750: 0AB4B4FA FF015E18
	v_mul_f32_dpp v91, v24, v91 row_newbcast:15 row_mask:0xf bank_mask:0xf// 000000009758: 0AB6B6FA FF015F18
	v_mul_f32_dpp v92, v24, v92 row_newbcast:12 row_mask:0xf bank_mask:0xf// 000000009760: 0AB8B8FA FF015C18
	v_mul_f32_dpp v93, v24, v93 row_newbcast:13 row_mask:0xf bank_mask:0xf// 000000009768: 0ABABAFA FF015D18
	v_mul_f32_dpp v94, v24, v94 row_newbcast:14 row_mask:0xf bank_mask:0xf// 000000009770: 0ABCBCFA FF015E18
	v_mul_f32_dpp v95, v24, v95 row_newbcast:15 row_mask:0xf bank_mask:0xf// 000000009778: 0ABEBEFA FF015F18
	v_mul_f32_dpp v96, v24, v96 row_newbcast:12 row_mask:0xf bank_mask:0xf// 000000009780: 0AC0C0FA FF015C18
	v_mul_f32_dpp v97, v24, v97 row_newbcast:13 row_mask:0xf bank_mask:0xf// 000000009788: 0AC2C2FA FF015D18
	v_mul_f32_dpp v98, v24, v98 row_newbcast:14 row_mask:0xf bank_mask:0xf// 000000009790: 0AC4C4FA FF015E18
	v_mul_f32_dpp v99, v24, v99 row_newbcast:15 row_mask:0xf bank_mask:0xf// 000000009798: 0AC6C6FA FF015F18
	v_mul_f32_dpp v100, v27, v100 row_newbcast:0 row_mask:0xf bank_mask:0xf// 0000000097A0: 0AC8C8FA FF01501B
	v_mul_f32_dpp v101, v27, v101 row_newbcast:1 row_mask:0xf bank_mask:0xf// 0000000097A8: 0ACACAFA FF01511B
	v_mul_f32_dpp v102, v27, v102 row_newbcast:2 row_mask:0xf bank_mask:0xf// 0000000097B0: 0ACCCCFA FF01521B
	v_mul_f32_dpp v103, v27, v103 row_newbcast:3 row_mask:0xf bank_mask:0xf// 0000000097B8: 0ACECEFA FF01531B
	v_mul_f32_dpp v104, v27, v104 row_newbcast:0 row_mask:0xf bank_mask:0xf// 0000000097C0: 0AD0D0FA FF01501B
	v_mul_f32_dpp v105, v27, v105 row_newbcast:1 row_mask:0xf bank_mask:0xf// 0000000097C8: 0AD2D2FA FF01511B
	v_mul_f32_dpp v106, v27, v106 row_newbcast:2 row_mask:0xf bank_mask:0xf// 0000000097D0: 0AD4D4FA FF01521B
	v_mul_f32_dpp v107, v27, v107 row_newbcast:3 row_mask:0xf bank_mask:0xf// 0000000097D8: 0AD6D6FA FF01531B
	v_mul_f32_dpp v108, v27, v108 row_newbcast:0 row_mask:0xf bank_mask:0xf// 0000000097E0: 0AD8D8FA FF01501B
	v_mul_f32_dpp v109, v27, v109 row_newbcast:1 row_mask:0xf bank_mask:0xf// 0000000097E8: 0ADADAFA FF01511B
	v_mul_f32_dpp v110, v27, v110 row_newbcast:2 row_mask:0xf bank_mask:0xf// 0000000097F0: 0ADCDCFA FF01521B
	v_mul_f32_dpp v111, v27, v111 row_newbcast:3 row_mask:0xf bank_mask:0xf// 0000000097F8: 0ADEDEFA FF01531B
	v_mul_f32_dpp v112, v27, v112 row_newbcast:4 row_mask:0xf bank_mask:0xf// 000000009800: 0AE0E0FA FF01541B
	v_mul_f32_dpp v113, v27, v113 row_newbcast:5 row_mask:0xf bank_mask:0xf// 000000009808: 0AE2E2FA FF01551B
	v_mul_f32_dpp v114, v27, v114 row_newbcast:6 row_mask:0xf bank_mask:0xf// 000000009810: 0AE4E4FA FF01561B
	v_mul_f32_dpp v115, v27, v115 row_newbcast:7 row_mask:0xf bank_mask:0xf// 000000009818: 0AE6E6FA FF01571B
	v_mul_f32_dpp v116, v27, v116 row_newbcast:4 row_mask:0xf bank_mask:0xf// 000000009820: 0AE8E8FA FF01541B
	v_mul_f32_dpp v117, v27, v117 row_newbcast:5 row_mask:0xf bank_mask:0xf// 000000009828: 0AEAEAFA FF01551B
	v_mul_f32_dpp v118, v27, v118 row_newbcast:6 row_mask:0xf bank_mask:0xf// 000000009830: 0AECECFA FF01561B
	v_mul_f32_dpp v119, v27, v119 row_newbcast:7 row_mask:0xf bank_mask:0xf// 000000009838: 0AEEEEFA FF01571B
	v_mul_f32_dpp v120, v27, v120 row_newbcast:4 row_mask:0xf bank_mask:0xf// 000000009840: 0AF0F0FA FF01541B
	v_mul_f32_dpp v121, v27, v121 row_newbcast:5 row_mask:0xf bank_mask:0xf// 000000009848: 0AF2F2FA FF01551B
	v_mul_f32_dpp v122, v27, v122 row_newbcast:6 row_mask:0xf bank_mask:0xf// 000000009850: 0AF4F4FA FF01561B
	v_mul_f32_dpp v123, v27, v123 row_newbcast:7 row_mask:0xf bank_mask:0xf// 000000009858: 0AF6F6FA FF01571B
	v_mul_f32_dpp v124, v27, v124 row_newbcast:8 row_mask:0xf bank_mask:0xf// 000000009860: 0AF8F8FA FF01581B
	v_mul_f32_dpp v125, v27, v125 row_newbcast:9 row_mask:0xf bank_mask:0xf// 000000009868: 0AFAFAFA FF01591B
	v_mul_f32_dpp v126, v27, v126 row_newbcast:10 row_mask:0xf bank_mask:0xf// 000000009870: 0AFCFCFA FF015A1B
	v_mul_f32_dpp v127, v27, v127 row_newbcast:11 row_mask:0xf bank_mask:0xf// 000000009878: 0AFEFEFA FF015B1B
	v_mul_f32_dpp v128, v27, v128 row_newbcast:8 row_mask:0xf bank_mask:0xf// 000000009880: 0B0100FA FF01581B
	v_mul_f32_dpp v129, v27, v129 row_newbcast:9 row_mask:0xf bank_mask:0xf// 000000009888: 0B0302FA FF01591B
	v_mul_f32_dpp v130, v27, v130 row_newbcast:10 row_mask:0xf bank_mask:0xf// 000000009890: 0B0504FA FF015A1B
	v_mul_f32_dpp v131, v27, v131 row_newbcast:11 row_mask:0xf bank_mask:0xf// 000000009898: 0B0706FA FF015B1B
	v_mul_f32_dpp v132, v27, v132 row_newbcast:8 row_mask:0xf bank_mask:0xf// 0000000098A0: 0B0908FA FF01581B
	v_mul_f32_dpp v133, v27, v133 row_newbcast:9 row_mask:0xf bank_mask:0xf// 0000000098A8: 0B0B0AFA FF01591B
	v_mul_f32_dpp v134, v27, v134 row_newbcast:10 row_mask:0xf bank_mask:0xf// 0000000098B0: 0B0D0CFA FF015A1B
	v_mul_f32_dpp v135, v27, v135 row_newbcast:11 row_mask:0xf bank_mask:0xf// 0000000098B8: 0B0F0EFA FF015B1B
	v_mul_f32_dpp v136, v27, v136 row_newbcast:12 row_mask:0xf bank_mask:0xf// 0000000098C0: 0B1110FA FF015C1B
	v_mul_f32_dpp v137, v27, v137 row_newbcast:13 row_mask:0xf bank_mask:0xf// 0000000098C8: 0B1312FA FF015D1B
	v_mul_f32_dpp v138, v27, v138 row_newbcast:14 row_mask:0xf bank_mask:0xf// 0000000098D0: 0B1514FA FF015E1B
	v_mul_f32_dpp v139, v27, v139 row_newbcast:15 row_mask:0xf bank_mask:0xf// 0000000098D8: 0B1716FA FF015F1B
	v_mul_f32_dpp v140, v27, v140 row_newbcast:12 row_mask:0xf bank_mask:0xf// 0000000098E0: 0B1918FA FF015C1B
	v_mul_f32_dpp v141, v27, v141 row_newbcast:13 row_mask:0xf bank_mask:0xf// 0000000098E8: 0B1B1AFA FF015D1B
	v_mul_f32_dpp v142, v27, v142 row_newbcast:14 row_mask:0xf bank_mask:0xf// 0000000098F0: 0B1D1CFA FF015E1B
	v_mul_f32_dpp v143, v27, v143 row_newbcast:15 row_mask:0xf bank_mask:0xf// 0000000098F8: 0B1F1EFA FF015F1B
	v_mul_f32_dpp v144, v27, v144 row_newbcast:12 row_mask:0xf bank_mask:0xf// 000000009900: 0B2120FA FF015C1B
	v_mul_f32_dpp v145, v27, v145 row_newbcast:13 row_mask:0xf bank_mask:0xf// 000000009908: 0B2322FA FF015D1B
	v_mul_f32_dpp v146, v27, v146 row_newbcast:14 row_mask:0xf bank_mask:0xf// 000000009910: 0B2524FA FF015E1B
	v_mul_f32_dpp v147, v27, v147 row_newbcast:15 row_mask:0xf bank_mask:0xf// 000000009918: 0B2726FA FF015F1B
	v_mov_b32_e32 v4, v33                                      // 000000009920: 7E080321
	v_mov_b32_e32 v5, v4                                       // 000000009924: 7E0A0304
	v_pk_mul_f32 v[52:53], v[4:5], v[52:53]                    // 000000009928: D3B14034 18026904
	v_pk_mul_f32 v[100:101], v[4:5], v[100:101]                // 000000009930: D3B14064 1802C904
	v_pk_mul_f32 v[54:55], v[4:5], v[54:55]                    // 000000009938: D3B14036 18026D04
	v_pk_mul_f32 v[102:103], v[4:5], v[102:103]                // 000000009940: D3B14066 1802CD04
	v_pk_mul_f32 v[64:65], v[4:5], v[64:65]                    // 000000009948: D3B14040 18028104
	v_pk_mul_f32 v[112:113], v[4:5], v[112:113]                // 000000009950: D3B14070 1802E104
	v_pk_mul_f32 v[66:67], v[4:5], v[66:67]                    // 000000009958: D3B14042 18028504
	v_pk_mul_f32 v[114:115], v[4:5], v[114:115]                // 000000009960: D3B14072 1802E504
	v_pk_mul_f32 v[76:77], v[4:5], v[76:77]                    // 000000009968: D3B1404C 18029904
	v_pk_mul_f32 v[124:125], v[4:5], v[124:125]                // 000000009970: D3B1407C 1802F904
	v_pk_mul_f32 v[78:79], v[4:5], v[78:79]                    // 000000009978: D3B1404E 18029D04
	v_pk_mul_f32 v[126:127], v[4:5], v[126:127]                // 000000009980: D3B1407E 1802FD04
	v_pk_mul_f32 v[88:89], v[4:5], v[88:89]                    // 000000009988: D3B14058 1802B104
	v_pk_mul_f32 v[136:137], v[4:5], v[136:137]                // 000000009990: D3B14088 18031104
	v_pk_mul_f32 v[90:91], v[4:5], v[90:91]                    // 000000009998: D3B1405A 1802B504
	v_pk_mul_f32 v[138:139], v[4:5], v[138:139]                // 0000000099A0: D3B1408A 18031504
	v_mov_b32_e32 v4, v34                                      // 0000000099A8: 7E080322
	v_mov_b32_e32 v5, v4                                       // 0000000099AC: 7E0A0304
	v_pk_mul_f32 v[56:57], v[4:5], v[56:57]                    // 0000000099B0: D3B14038 18027104
	v_pk_mul_f32 v[104:105], v[4:5], v[104:105]                // 0000000099B8: D3B14068 1802D104
	v_pk_mul_f32 v[58:59], v[4:5], v[58:59]                    // 0000000099C0: D3B1403A 18027504
	v_pk_mul_f32 v[106:107], v[4:5], v[106:107]                // 0000000099C8: D3B1406A 1802D504
	v_pk_mul_f32 v[68:69], v[4:5], v[68:69]                    // 0000000099D0: D3B14044 18028904
	v_pk_mul_f32 v[116:117], v[4:5], v[116:117]                // 0000000099D8: D3B14074 1802E904
	v_pk_mul_f32 v[70:71], v[4:5], v[70:71]                    // 0000000099E0: D3B14046 18028D04
	v_pk_mul_f32 v[118:119], v[4:5], v[118:119]                // 0000000099E8: D3B14076 1802ED04
	v_pk_mul_f32 v[80:81], v[4:5], v[80:81]                    // 0000000099F0: D3B14050 1802A104
	v_pk_mul_f32 v[128:129], v[4:5], v[128:129]                // 0000000099F8: D3B14080 18030104
	v_pk_mul_f32 v[82:83], v[4:5], v[82:83]                    // 000000009A00: D3B14052 1802A504
	v_pk_mul_f32 v[130:131], v[4:5], v[130:131]                // 000000009A08: D3B14082 18030504
	v_pk_mul_f32 v[92:93], v[4:5], v[92:93]                    // 000000009A10: D3B1405C 1802B904
	v_pk_mul_f32 v[140:141], v[4:5], v[140:141]                // 000000009A18: D3B1408C 18031904
	v_pk_mul_f32 v[94:95], v[4:5], v[94:95]                    // 000000009A20: D3B1405E 1802BD04
	v_pk_mul_f32 v[142:143], v[4:5], v[142:143]                // 000000009A28: D3B1408E 18031D04
	v_mov_b32_e32 v4, v35                                      // 000000009A30: 7E080323
	v_mov_b32_e32 v5, v4                                       // 000000009A34: 7E0A0304
	v_pk_mul_f32 v[60:61], v[4:5], v[60:61]                    // 000000009A38: D3B1403C 18027904
	v_pk_mul_f32 v[108:109], v[4:5], v[108:109]                // 000000009A40: D3B1406C 1802D904
	v_pk_mul_f32 v[62:63], v[4:5], v[62:63]                    // 000000009A48: D3B1403E 18027D04
	v_pk_mul_f32 v[110:111], v[4:5], v[110:111]                // 000000009A50: D3B1406E 1802DD04
	v_pk_mul_f32 v[72:73], v[4:5], v[72:73]                    // 000000009A58: D3B14048 18029104
	v_pk_mul_f32 v[120:121], v[4:5], v[120:121]                // 000000009A60: D3B14078 1802F104
	v_pk_mul_f32 v[74:75], v[4:5], v[74:75]                    // 000000009A68: D3B1404A 18029504
	v_pk_mul_f32 v[122:123], v[4:5], v[122:123]                // 000000009A70: D3B1407A 1802F504
	v_pk_mul_f32 v[84:85], v[4:5], v[84:85]                    // 000000009A78: D3B14054 1802A904
	v_pk_mul_f32 v[132:133], v[4:5], v[132:133]                // 000000009A80: D3B14084 18030904
	v_pk_mul_f32 v[86:87], v[4:5], v[86:87]                    // 000000009A88: D3B14056 1802AD04
	v_pk_mul_f32 v[134:135], v[4:5], v[134:135]                // 000000009A90: D3B14086 18030D04
	v_pk_mul_f32 v[96:97], v[4:5], v[96:97]                    // 000000009A98: D3B14060 1802C104
	v_pk_mul_f32 v[144:145], v[4:5], v[144:145]                // 000000009AA0: D3B14090 18032104
	v_pk_mul_f32 v[98:99], v[4:5], v[98:99]                    // 000000009AA8: D3B14062 1802C504
	v_pk_mul_f32 v[146:147], v[4:5], v[146:147]                // 000000009AB0: D3B14092 18032504
	s_cmp_eq_u32 s88, 0                                        // 000000009AB8: BF068058
	s_cbranch_scc0 label_2260                                  // 000000009ABC: BF84062D
	s_cmp_eq_u32 s89, 0                                        // 000000009AC0: BF068059
	s_cbranch_scc1 label_1E1A                                  // 000000009AC4: BF8501E5
	v_mov_b32_e32 v8, v1                                       // 000000009AC8: 7E100301
	v_mov_b32_e32 v9, v1                                       // 000000009ACC: 7E120301
	s_mov_b32 s60, s6                                          // 000000009AD0: BEBC0006
	s_mov_b32 s61, s6                                          // 000000009AD4: BEBD0006
	v_pk_mul_f32 v[4:5], v[52:53], v[52:53]                    // 000000009AD8: D3B14004 18026934
	v_pk_mul_f32 v[6:7], v[54:55], v[54:55]                    // 000000009AE0: D3B14006 18026D36
	v_pk_fma_f32 v[4:5], v[4:5], s[78:79], v[8:9]              // 000000009AE8: D3B04004 1C209D04
	v_pk_fma_f32 v[6:7], v[6:7], s[78:79], v[8:9]              // 000000009AF0: D3B04006 1C209D06
	v_pk_mul_f32 v[4:5], v[4:5], v[52:53]                      // 000000009AF8: D3B14004 18026904
	v_pk_mul_f32 v[6:7], v[6:7], v[54:55]                      // 000000009B00: D3B14006 18026D06
	v_pk_mul_f32 v[4:5], v[4:5], s[60:61]                      // 000000009B08: D3B14004 18007904
	v_pk_mul_f32 v[6:7], v[6:7], s[60:61]                      // 000000009B10: D3B14006 18007906
	v_exp_f32_e32 v4, v4                                       // 000000009B18: 7E084104
	v_exp_f32_e32 v5, v5                                       // 000000009B1C: 7E0A4105
	v_exp_f32_e32 v6, v6                                       // 000000009B20: 7E0C4106
	v_exp_f32_e32 v7, v7                                       // 000000009B24: 7E0E4107
	v_add_f32_e64 v4, v4, 1.0                                  // 000000009B28: D1010004 0001E504
	v_add_f32_e64 v5, v5, 1.0                                  // 000000009B30: D1010005 0001E505
	v_add_f32_e64 v6, v6, 1.0                                  // 000000009B38: D1010006 0001E506
	v_add_f32_e64 v7, v7, 1.0                                  // 000000009B40: D1010007 0001E507
	v_rcp_f32_e32 v4, v4                                       // 000000009B48: 7E084504
	v_rcp_f32_e32 v5, v5                                       // 000000009B4C: 7E0A4505
	v_rcp_f32_e32 v6, v6                                       // 000000009B50: 7E0C4506
	v_rcp_f32_e32 v7, v7                                       // 000000009B54: 7E0E4507
	v_mul_f32_e32 v52, v52, v4                                 // 000000009B58: 0A680934
	v_mul_f32_e32 v53, v53, v5                                 // 000000009B5C: 0A6A0B35
	v_mul_f32_e32 v54, v54, v6                                 // 000000009B60: 0A6C0D36
	v_mul_f32_e32 v55, v55, v7                                 // 000000009B64: 0A6E0F37
	v_mul_f32_e32 v52, v52, v100                               // 000000009B68: 0A68C934
	v_mul_f32_e32 v53, v53, v101                               // 000000009B6C: 0A6ACB35
	v_mul_f32_e32 v54, v54, v102                               // 000000009B70: 0A6CCD36
	v_mul_f32_e32 v55, v55, v103                               // 000000009B74: 0A6ECF37
	v_pk_mul_f32 v[4:5], v[56:57], v[56:57]                    // 000000009B78: D3B14004 18027138
	v_pk_mul_f32 v[6:7], v[58:59], v[58:59]                    // 000000009B80: D3B14006 1802753A
	v_pk_fma_f32 v[4:5], v[4:5], s[78:79], v[8:9]              // 000000009B88: D3B04004 1C209D04
	v_pk_fma_f32 v[6:7], v[6:7], s[78:79], v[8:9]              // 000000009B90: D3B04006 1C209D06
	v_pk_mul_f32 v[4:5], v[4:5], v[56:57]                      // 000000009B98: D3B14004 18027104
	v_pk_mul_f32 v[6:7], v[6:7], v[58:59]                      // 000000009BA0: D3B14006 18027506
	v_pk_mul_f32 v[4:5], v[4:5], s[60:61]                      // 000000009BA8: D3B14004 18007904
	v_pk_mul_f32 v[6:7], v[6:7], s[60:61]                      // 000000009BB0: D3B14006 18007906
	v_exp_f32_e32 v4, v4                                       // 000000009BB8: 7E084104
	v_exp_f32_e32 v5, v5                                       // 000000009BBC: 7E0A4105
	v_exp_f32_e32 v6, v6                                       // 000000009BC0: 7E0C4106
	v_exp_f32_e32 v7, v7                                       // 000000009BC4: 7E0E4107
	v_add_f32_e64 v4, v4, 1.0                                  // 000000009BC8: D1010004 0001E504
	v_add_f32_e64 v5, v5, 1.0                                  // 000000009BD0: D1010005 0001E505
	v_add_f32_e64 v6, v6, 1.0                                  // 000000009BD8: D1010006 0001E506
	v_add_f32_e64 v7, v7, 1.0                                  // 000000009BE0: D1010007 0001E507
	v_rcp_f32_e32 v4, v4                                       // 000000009BE8: 7E084504
	v_rcp_f32_e32 v5, v5                                       // 000000009BEC: 7E0A4505
	v_rcp_f32_e32 v6, v6                                       // 000000009BF0: 7E0C4506
	v_rcp_f32_e32 v7, v7                                       // 000000009BF4: 7E0E4507
	v_mul_f32_e32 v56, v56, v4                                 // 000000009BF8: 0A700938
	v_mul_f32_e32 v57, v57, v5                                 // 000000009BFC: 0A720B39
	v_mul_f32_e32 v58, v58, v6                                 // 000000009C00: 0A740D3A
	v_mul_f32_e32 v59, v59, v7                                 // 000000009C04: 0A760F3B
	v_mul_f32_e32 v56, v56, v104                               // 000000009C08: 0A70D138
	v_mul_f32_e32 v57, v57, v105                               // 000000009C0C: 0A72D339
	v_mul_f32_e32 v58, v58, v106                               // 000000009C10: 0A74D53A
	v_mul_f32_e32 v59, v59, v107                               // 000000009C14: 0A76D73B
	v_pk_mul_f32 v[4:5], v[60:61], v[60:61]                    // 000000009C18: D3B14004 1802793C
	v_pk_mul_f32 v[6:7], v[62:63], v[62:63]                    // 000000009C20: D3B14006 18027D3E
	v_pk_fma_f32 v[4:5], v[4:5], s[78:79], v[8:9]              // 000000009C28: D3B04004 1C209D04
	v_pk_fma_f32 v[6:7], v[6:7], s[78:79], v[8:9]              // 000000009C30: D3B04006 1C209D06
	v_pk_mul_f32 v[4:5], v[4:5], v[60:61]                      // 000000009C38: D3B14004 18027904
	v_pk_mul_f32 v[6:7], v[6:7], v[62:63]                      // 000000009C40: D3B14006 18027D06
	v_pk_mul_f32 v[4:5], v[4:5], s[60:61]                      // 000000009C48: D3B14004 18007904
	v_pk_mul_f32 v[6:7], v[6:7], s[60:61]                      // 000000009C50: D3B14006 18007906
	v_exp_f32_e32 v4, v4                                       // 000000009C58: 7E084104
	v_exp_f32_e32 v5, v5                                       // 000000009C5C: 7E0A4105
	v_exp_f32_e32 v6, v6                                       // 000000009C60: 7E0C4106
	v_exp_f32_e32 v7, v7                                       // 000000009C64: 7E0E4107
	v_add_f32_e64 v4, v4, 1.0                                  // 000000009C68: D1010004 0001E504
	v_add_f32_e64 v5, v5, 1.0                                  // 000000009C70: D1010005 0001E505
	v_add_f32_e64 v6, v6, 1.0                                  // 000000009C78: D1010006 0001E506
	v_add_f32_e64 v7, v7, 1.0                                  // 000000009C80: D1010007 0001E507
	v_rcp_f32_e32 v4, v4                                       // 000000009C88: 7E084504
	v_rcp_f32_e32 v5, v5                                       // 000000009C8C: 7E0A4505
	v_rcp_f32_e32 v6, v6                                       // 000000009C90: 7E0C4506
	v_rcp_f32_e32 v7, v7                                       // 000000009C94: 7E0E4507
	v_mul_f32_e32 v60, v60, v4                                 // 000000009C98: 0A78093C
	v_mul_f32_e32 v61, v61, v5                                 // 000000009C9C: 0A7A0B3D
	v_mul_f32_e32 v62, v62, v6                                 // 000000009CA0: 0A7C0D3E
	v_mul_f32_e32 v63, v63, v7                                 // 000000009CA4: 0A7E0F3F
	v_mul_f32_e32 v60, v60, v108                               // 000000009CA8: 0A78D93C
	v_mul_f32_e32 v61, v61, v109                               // 000000009CAC: 0A7ADB3D
	v_mul_f32_e32 v62, v62, v110                               // 000000009CB0: 0A7CDD3E
	v_mul_f32_e32 v63, v63, v111                               // 000000009CB4: 0A7EDF3F
	v_pk_mul_f32 v[4:5], v[64:65], v[64:65]                    // 000000009CB8: D3B14004 18028140
	v_pk_mul_f32 v[6:7], v[66:67], v[66:67]                    // 000000009CC0: D3B14006 18028542
	v_pk_fma_f32 v[4:5], v[4:5], s[78:79], v[8:9]              // 000000009CC8: D3B04004 1C209D04
	v_pk_fma_f32 v[6:7], v[6:7], s[78:79], v[8:9]              // 000000009CD0: D3B04006 1C209D06
	v_pk_mul_f32 v[4:5], v[4:5], v[64:65]                      // 000000009CD8: D3B14004 18028104
	v_pk_mul_f32 v[6:7], v[6:7], v[66:67]                      // 000000009CE0: D3B14006 18028506
	v_pk_mul_f32 v[4:5], v[4:5], s[60:61]                      // 000000009CE8: D3B14004 18007904
	v_pk_mul_f32 v[6:7], v[6:7], s[60:61]                      // 000000009CF0: D3B14006 18007906
	v_exp_f32_e32 v4, v4                                       // 000000009CF8: 7E084104
	v_exp_f32_e32 v5, v5                                       // 000000009CFC: 7E0A4105
	v_exp_f32_e32 v6, v6                                       // 000000009D00: 7E0C4106
	v_exp_f32_e32 v7, v7                                       // 000000009D04: 7E0E4107
	v_add_f32_e64 v4, v4, 1.0                                  // 000000009D08: D1010004 0001E504
	v_add_f32_e64 v5, v5, 1.0                                  // 000000009D10: D1010005 0001E505
	v_add_f32_e64 v6, v6, 1.0                                  // 000000009D18: D1010006 0001E506
	v_add_f32_e64 v7, v7, 1.0                                  // 000000009D20: D1010007 0001E507
	v_rcp_f32_e32 v4, v4                                       // 000000009D28: 7E084504
	v_rcp_f32_e32 v5, v5                                       // 000000009D2C: 7E0A4505
	v_rcp_f32_e32 v6, v6                                       // 000000009D30: 7E0C4506
	v_rcp_f32_e32 v7, v7                                       // 000000009D34: 7E0E4507
	v_mul_f32_e32 v64, v64, v4                                 // 000000009D38: 0A800940
	v_mul_f32_e32 v65, v65, v5                                 // 000000009D3C: 0A820B41
	v_mul_f32_e32 v66, v66, v6                                 // 000000009D40: 0A840D42
	v_mul_f32_e32 v67, v67, v7                                 // 000000009D44: 0A860F43
	v_mul_f32_e32 v64, v64, v112                               // 000000009D48: 0A80E140
	v_mul_f32_e32 v65, v65, v113                               // 000000009D4C: 0A82E341
	v_mul_f32_e32 v66, v66, v114                               // 000000009D50: 0A84E542
	v_mul_f32_e32 v67, v67, v115                               // 000000009D54: 0A86E743
	v_pk_mul_f32 v[4:5], v[68:69], v[68:69]                    // 000000009D58: D3B14004 18028944
	v_pk_mul_f32 v[6:7], v[70:71], v[70:71]                    // 000000009D60: D3B14006 18028D46
	v_pk_fma_f32 v[4:5], v[4:5], s[78:79], v[8:9]              // 000000009D68: D3B04004 1C209D04
	v_pk_fma_f32 v[6:7], v[6:7], s[78:79], v[8:9]              // 000000009D70: D3B04006 1C209D06
	v_pk_mul_f32 v[4:5], v[4:5], v[68:69]                      // 000000009D78: D3B14004 18028904
	v_pk_mul_f32 v[6:7], v[6:7], v[70:71]                      // 000000009D80: D3B14006 18028D06
	v_pk_mul_f32 v[4:5], v[4:5], s[60:61]                      // 000000009D88: D3B14004 18007904
	v_pk_mul_f32 v[6:7], v[6:7], s[60:61]                      // 000000009D90: D3B14006 18007906
	v_exp_f32_e32 v4, v4                                       // 000000009D98: 7E084104
	v_exp_f32_e32 v5, v5                                       // 000000009D9C: 7E0A4105
	v_exp_f32_e32 v6, v6                                       // 000000009DA0: 7E0C4106
	v_exp_f32_e32 v7, v7                                       // 000000009DA4: 7E0E4107
	v_add_f32_e64 v4, v4, 1.0                                  // 000000009DA8: D1010004 0001E504
	v_add_f32_e64 v5, v5, 1.0                                  // 000000009DB0: D1010005 0001E505
	v_add_f32_e64 v6, v6, 1.0                                  // 000000009DB8: D1010006 0001E506
	v_add_f32_e64 v7, v7, 1.0                                  // 000000009DC0: D1010007 0001E507
	v_rcp_f32_e32 v4, v4                                       // 000000009DC8: 7E084504
	v_rcp_f32_e32 v5, v5                                       // 000000009DCC: 7E0A4505
	v_rcp_f32_e32 v6, v6                                       // 000000009DD0: 7E0C4506
	v_rcp_f32_e32 v7, v7                                       // 000000009DD4: 7E0E4507
	v_mul_f32_e32 v68, v68, v4                                 // 000000009DD8: 0A880944
	v_mul_f32_e32 v69, v69, v5                                 // 000000009DDC: 0A8A0B45
	v_mul_f32_e32 v70, v70, v6                                 // 000000009DE0: 0A8C0D46
	v_mul_f32_e32 v71, v71, v7                                 // 000000009DE4: 0A8E0F47
	v_mul_f32_e32 v68, v68, v116                               // 000000009DE8: 0A88E944
	v_mul_f32_e32 v69, v69, v117                               // 000000009DEC: 0A8AEB45
	v_mul_f32_e32 v70, v70, v118                               // 000000009DF0: 0A8CED46
	v_mul_f32_e32 v71, v71, v119                               // 000000009DF4: 0A8EEF47
	v_pk_mul_f32 v[4:5], v[72:73], v[72:73]                    // 000000009DF8: D3B14004 18029148
	v_pk_mul_f32 v[6:7], v[74:75], v[74:75]                    // 000000009E00: D3B14006 1802954A
	v_pk_fma_f32 v[4:5], v[4:5], s[78:79], v[8:9]              // 000000009E08: D3B04004 1C209D04
	v_pk_fma_f32 v[6:7], v[6:7], s[78:79], v[8:9]              // 000000009E10: D3B04006 1C209D06
	v_pk_mul_f32 v[4:5], v[4:5], v[72:73]                      // 000000009E18: D3B14004 18029104
	v_pk_mul_f32 v[6:7], v[6:7], v[74:75]                      // 000000009E20: D3B14006 18029506
	v_pk_mul_f32 v[4:5], v[4:5], s[60:61]                      // 000000009E28: D3B14004 18007904
	v_pk_mul_f32 v[6:7], v[6:7], s[60:61]                      // 000000009E30: D3B14006 18007906
	v_exp_f32_e32 v4, v4                                       // 000000009E38: 7E084104
	v_exp_f32_e32 v5, v5                                       // 000000009E3C: 7E0A4105
	v_exp_f32_e32 v6, v6                                       // 000000009E40: 7E0C4106
	v_exp_f32_e32 v7, v7                                       // 000000009E44: 7E0E4107
	v_add_f32_e64 v4, v4, 1.0                                  // 000000009E48: D1010004 0001E504
	v_add_f32_e64 v5, v5, 1.0                                  // 000000009E50: D1010005 0001E505
	v_add_f32_e64 v6, v6, 1.0                                  // 000000009E58: D1010006 0001E506
	v_add_f32_e64 v7, v7, 1.0                                  // 000000009E60: D1010007 0001E507
	v_rcp_f32_e32 v4, v4                                       // 000000009E68: 7E084504
	v_rcp_f32_e32 v5, v5                                       // 000000009E6C: 7E0A4505
	v_rcp_f32_e32 v6, v6                                       // 000000009E70: 7E0C4506
	v_rcp_f32_e32 v7, v7                                       // 000000009E74: 7E0E4507
	v_mul_f32_e32 v72, v72, v4                                 // 000000009E78: 0A900948
	v_mul_f32_e32 v73, v73, v5                                 // 000000009E7C: 0A920B49
	v_mul_f32_e32 v74, v74, v6                                 // 000000009E80: 0A940D4A
	v_mul_f32_e32 v75, v75, v7                                 // 000000009E84: 0A960F4B
	v_mul_f32_e32 v72, v72, v120                               // 000000009E88: 0A90F148
	v_mul_f32_e32 v73, v73, v121                               // 000000009E8C: 0A92F349
	v_mul_f32_e32 v74, v74, v122                               // 000000009E90: 0A94F54A
	v_mul_f32_e32 v75, v75, v123                               // 000000009E94: 0A96F74B
	v_pk_mul_f32 v[4:5], v[76:77], v[76:77]                    // 000000009E98: D3B14004 1802994C
	v_pk_mul_f32 v[6:7], v[78:79], v[78:79]                    // 000000009EA0: D3B14006 18029D4E
	v_pk_fma_f32 v[4:5], v[4:5], s[78:79], v[8:9]              // 000000009EA8: D3B04004 1C209D04
	v_pk_fma_f32 v[6:7], v[6:7], s[78:79], v[8:9]              // 000000009EB0: D3B04006 1C209D06
	v_pk_mul_f32 v[4:5], v[4:5], v[76:77]                      // 000000009EB8: D3B14004 18029904
	v_pk_mul_f32 v[6:7], v[6:7], v[78:79]                      // 000000009EC0: D3B14006 18029D06
	v_pk_mul_f32 v[4:5], v[4:5], s[60:61]                      // 000000009EC8: D3B14004 18007904
	v_pk_mul_f32 v[6:7], v[6:7], s[60:61]                      // 000000009ED0: D3B14006 18007906
	v_exp_f32_e32 v4, v4                                       // 000000009ED8: 7E084104
	v_exp_f32_e32 v5, v5                                       // 000000009EDC: 7E0A4105
	v_exp_f32_e32 v6, v6                                       // 000000009EE0: 7E0C4106
	v_exp_f32_e32 v7, v7                                       // 000000009EE4: 7E0E4107
	v_add_f32_e64 v4, v4, 1.0                                  // 000000009EE8: D1010004 0001E504
	v_add_f32_e64 v5, v5, 1.0                                  // 000000009EF0: D1010005 0001E505
	v_add_f32_e64 v6, v6, 1.0                                  // 000000009EF8: D1010006 0001E506
	v_add_f32_e64 v7, v7, 1.0                                  // 000000009F00: D1010007 0001E507
	v_rcp_f32_e32 v4, v4                                       // 000000009F08: 7E084504
	v_rcp_f32_e32 v5, v5                                       // 000000009F0C: 7E0A4505
	v_rcp_f32_e32 v6, v6                                       // 000000009F10: 7E0C4506
	v_rcp_f32_e32 v7, v7                                       // 000000009F14: 7E0E4507
	v_mul_f32_e32 v76, v76, v4                                 // 000000009F18: 0A98094C
	v_mul_f32_e32 v77, v77, v5                                 // 000000009F1C: 0A9A0B4D
	v_mul_f32_e32 v78, v78, v6                                 // 000000009F20: 0A9C0D4E
	v_mul_f32_e32 v79, v79, v7                                 // 000000009F24: 0A9E0F4F
	v_mul_f32_e32 v76, v76, v124                               // 000000009F28: 0A98F94C
	v_mul_f32_e32 v77, v77, v125                               // 000000009F2C: 0A9AFB4D
	v_mul_f32_e32 v78, v78, v126                               // 000000009F30: 0A9CFD4E
	v_mul_f32_e32 v79, v79, v127                               // 000000009F34: 0A9EFF4F
	v_pk_mul_f32 v[4:5], v[80:81], v[80:81]                    // 000000009F38: D3B14004 1802A150
	v_pk_mul_f32 v[6:7], v[82:83], v[82:83]                    // 000000009F40: D3B14006 1802A552
	v_pk_fma_f32 v[4:5], v[4:5], s[78:79], v[8:9]              // 000000009F48: D3B04004 1C209D04
	v_pk_fma_f32 v[6:7], v[6:7], s[78:79], v[8:9]              // 000000009F50: D3B04006 1C209D06
	v_pk_mul_f32 v[4:5], v[4:5], v[80:81]                      // 000000009F58: D3B14004 1802A104
	v_pk_mul_f32 v[6:7], v[6:7], v[82:83]                      // 000000009F60: D3B14006 1802A506
	v_pk_mul_f32 v[4:5], v[4:5], s[60:61]                      // 000000009F68: D3B14004 18007904
	v_pk_mul_f32 v[6:7], v[6:7], s[60:61]                      // 000000009F70: D3B14006 18007906
	v_exp_f32_e32 v4, v4                                       // 000000009F78: 7E084104
	v_exp_f32_e32 v5, v5                                       // 000000009F7C: 7E0A4105
	v_exp_f32_e32 v6, v6                                       // 000000009F80: 7E0C4106
	v_exp_f32_e32 v7, v7                                       // 000000009F84: 7E0E4107
	v_add_f32_e64 v4, v4, 1.0                                  // 000000009F88: D1010004 0001E504
	v_add_f32_e64 v5, v5, 1.0                                  // 000000009F90: D1010005 0001E505
	v_add_f32_e64 v6, v6, 1.0                                  // 000000009F98: D1010006 0001E506
	v_add_f32_e64 v7, v7, 1.0                                  // 000000009FA0: D1010007 0001E507
	v_rcp_f32_e32 v4, v4                                       // 000000009FA8: 7E084504
	v_rcp_f32_e32 v5, v5                                       // 000000009FAC: 7E0A4505
	v_rcp_f32_e32 v6, v6                                       // 000000009FB0: 7E0C4506
	v_rcp_f32_e32 v7, v7                                       // 000000009FB4: 7E0E4507
	v_mul_f32_e32 v80, v80, v4                                 // 000000009FB8: 0AA00950
	v_mul_f32_e32 v81, v81, v5                                 // 000000009FBC: 0AA20B51
	v_mul_f32_e32 v82, v82, v6                                 // 000000009FC0: 0AA40D52
	v_mul_f32_e32 v83, v83, v7                                 // 000000009FC4: 0AA60F53
	v_mul_f32_e32 v80, v80, v128                               // 000000009FC8: 0AA10150
	v_mul_f32_e32 v81, v81, v129                               // 000000009FCC: 0AA30351
	v_mul_f32_e32 v82, v82, v130                               // 000000009FD0: 0AA50552
	v_mul_f32_e32 v83, v83, v131                               // 000000009FD4: 0AA70753
	v_pk_mul_f32 v[4:5], v[84:85], v[84:85]                    // 000000009FD8: D3B14004 1802A954
	v_pk_mul_f32 v[6:7], v[86:87], v[86:87]                    // 000000009FE0: D3B14006 1802AD56
	v_pk_fma_f32 v[4:5], v[4:5], s[78:79], v[8:9]              // 000000009FE8: D3B04004 1C209D04
	v_pk_fma_f32 v[6:7], v[6:7], s[78:79], v[8:9]              // 000000009FF0: D3B04006 1C209D06
	v_pk_mul_f32 v[4:5], v[4:5], v[84:85]                      // 000000009FF8: D3B14004 1802A904
	v_pk_mul_f32 v[6:7], v[6:7], v[86:87]                      // 00000000A000: D3B14006 1802AD06
	v_pk_mul_f32 v[4:5], v[4:5], s[60:61]                      // 00000000A008: D3B14004 18007904
	v_pk_mul_f32 v[6:7], v[6:7], s[60:61]                      // 00000000A010: D3B14006 18007906
	v_exp_f32_e32 v4, v4                                       // 00000000A018: 7E084104
	v_exp_f32_e32 v5, v5                                       // 00000000A01C: 7E0A4105
	v_exp_f32_e32 v6, v6                                       // 00000000A020: 7E0C4106
	v_exp_f32_e32 v7, v7                                       // 00000000A024: 7E0E4107
	v_add_f32_e64 v4, v4, 1.0                                  // 00000000A028: D1010004 0001E504
	v_add_f32_e64 v5, v5, 1.0                                  // 00000000A030: D1010005 0001E505
	v_add_f32_e64 v6, v6, 1.0                                  // 00000000A038: D1010006 0001E506
	v_add_f32_e64 v7, v7, 1.0                                  // 00000000A040: D1010007 0001E507
	v_rcp_f32_e32 v4, v4                                       // 00000000A048: 7E084504
	v_rcp_f32_e32 v5, v5                                       // 00000000A04C: 7E0A4505
	v_rcp_f32_e32 v6, v6                                       // 00000000A050: 7E0C4506
	v_rcp_f32_e32 v7, v7                                       // 00000000A054: 7E0E4507
	v_mul_f32_e32 v84, v84, v4                                 // 00000000A058: 0AA80954
	v_mul_f32_e32 v85, v85, v5                                 // 00000000A05C: 0AAA0B55
	v_mul_f32_e32 v86, v86, v6                                 // 00000000A060: 0AAC0D56
	v_mul_f32_e32 v87, v87, v7                                 // 00000000A064: 0AAE0F57
	v_mul_f32_e32 v84, v84, v132                               // 00000000A068: 0AA90954
	v_mul_f32_e32 v85, v85, v133                               // 00000000A06C: 0AAB0B55
	v_mul_f32_e32 v86, v86, v134                               // 00000000A070: 0AAD0D56
	v_mul_f32_e32 v87, v87, v135                               // 00000000A074: 0AAF0F57
	v_pk_mul_f32 v[4:5], v[88:89], v[88:89]                    // 00000000A078: D3B14004 1802B158
	v_pk_mul_f32 v[6:7], v[90:91], v[90:91]                    // 00000000A080: D3B14006 1802B55A
	v_pk_fma_f32 v[4:5], v[4:5], s[78:79], v[8:9]              // 00000000A088: D3B04004 1C209D04
	v_pk_fma_f32 v[6:7], v[6:7], s[78:79], v[8:9]              // 00000000A090: D3B04006 1C209D06
	v_pk_mul_f32 v[4:5], v[4:5], v[88:89]                      // 00000000A098: D3B14004 1802B104
	v_pk_mul_f32 v[6:7], v[6:7], v[90:91]                      // 00000000A0A0: D3B14006 1802B506
	v_pk_mul_f32 v[4:5], v[4:5], s[60:61]                      // 00000000A0A8: D3B14004 18007904
	v_pk_mul_f32 v[6:7], v[6:7], s[60:61]                      // 00000000A0B0: D3B14006 18007906
	v_exp_f32_e32 v4, v4                                       // 00000000A0B8: 7E084104
	v_exp_f32_e32 v5, v5                                       // 00000000A0BC: 7E0A4105
	v_exp_f32_e32 v6, v6                                       // 00000000A0C0: 7E0C4106
	v_exp_f32_e32 v7, v7                                       // 00000000A0C4: 7E0E4107
	v_add_f32_e64 v4, v4, 1.0                                  // 00000000A0C8: D1010004 0001E504
	v_add_f32_e64 v5, v5, 1.0                                  // 00000000A0D0: D1010005 0001E505
	v_add_f32_e64 v6, v6, 1.0                                  // 00000000A0D8: D1010006 0001E506
	v_add_f32_e64 v7, v7, 1.0                                  // 00000000A0E0: D1010007 0001E507
	v_rcp_f32_e32 v4, v4                                       // 00000000A0E8: 7E084504
	v_rcp_f32_e32 v5, v5                                       // 00000000A0EC: 7E0A4505
	v_rcp_f32_e32 v6, v6                                       // 00000000A0F0: 7E0C4506
	v_rcp_f32_e32 v7, v7                                       // 00000000A0F4: 7E0E4507
	v_mul_f32_e32 v88, v88, v4                                 // 00000000A0F8: 0AB00958
	v_mul_f32_e32 v89, v89, v5                                 // 00000000A0FC: 0AB20B59
	v_mul_f32_e32 v90, v90, v6                                 // 00000000A100: 0AB40D5A
	v_mul_f32_e32 v91, v91, v7                                 // 00000000A104: 0AB60F5B
	v_mul_f32_e32 v88, v88, v136                               // 00000000A108: 0AB11158
	v_mul_f32_e32 v89, v89, v137                               // 00000000A10C: 0AB31359
	v_mul_f32_e32 v90, v90, v138                               // 00000000A110: 0AB5155A
	v_mul_f32_e32 v91, v91, v139                               // 00000000A114: 0AB7175B
	v_pk_mul_f32 v[4:5], v[92:93], v[92:93]                    // 00000000A118: D3B14004 1802B95C
	v_pk_mul_f32 v[6:7], v[94:95], v[94:95]                    // 00000000A120: D3B14006 1802BD5E
	v_pk_fma_f32 v[4:5], v[4:5], s[78:79], v[8:9]              // 00000000A128: D3B04004 1C209D04
	v_pk_fma_f32 v[6:7], v[6:7], s[78:79], v[8:9]              // 00000000A130: D3B04006 1C209D06
	v_pk_mul_f32 v[4:5], v[4:5], v[92:93]                      // 00000000A138: D3B14004 1802B904
	v_pk_mul_f32 v[6:7], v[6:7], v[94:95]                      // 00000000A140: D3B14006 1802BD06
	v_pk_mul_f32 v[4:5], v[4:5], s[60:61]                      // 00000000A148: D3B14004 18007904
	v_pk_mul_f32 v[6:7], v[6:7], s[60:61]                      // 00000000A150: D3B14006 18007906
	v_exp_f32_e32 v4, v4                                       // 00000000A158: 7E084104
	v_exp_f32_e32 v5, v5                                       // 00000000A15C: 7E0A4105
	v_exp_f32_e32 v6, v6                                       // 00000000A160: 7E0C4106
	v_exp_f32_e32 v7, v7                                       // 00000000A164: 7E0E4107
	v_add_f32_e64 v4, v4, 1.0                                  // 00000000A168: D1010004 0001E504
	v_add_f32_e64 v5, v5, 1.0                                  // 00000000A170: D1010005 0001E505
	v_add_f32_e64 v6, v6, 1.0                                  // 00000000A178: D1010006 0001E506
	v_add_f32_e64 v7, v7, 1.0                                  // 00000000A180: D1010007 0001E507
	v_rcp_f32_e32 v4, v4                                       // 00000000A188: 7E084504
	v_rcp_f32_e32 v5, v5                                       // 00000000A18C: 7E0A4505
	v_rcp_f32_e32 v6, v6                                       // 00000000A190: 7E0C4506
	v_rcp_f32_e32 v7, v7                                       // 00000000A194: 7E0E4507
	v_mul_f32_e32 v92, v92, v4                                 // 00000000A198: 0AB8095C
	v_mul_f32_e32 v93, v93, v5                                 // 00000000A19C: 0ABA0B5D
	v_mul_f32_e32 v94, v94, v6                                 // 00000000A1A0: 0ABC0D5E
	v_mul_f32_e32 v95, v95, v7                                 // 00000000A1A4: 0ABE0F5F
	v_mul_f32_e32 v92, v92, v140                               // 00000000A1A8: 0AB9195C
	v_mul_f32_e32 v93, v93, v141                               // 00000000A1AC: 0ABB1B5D
	v_mul_f32_e32 v94, v94, v142                               // 00000000A1B0: 0ABD1D5E
	v_mul_f32_e32 v95, v95, v143                               // 00000000A1B4: 0ABF1F5F
	v_pk_mul_f32 v[4:5], v[96:97], v[96:97]                    // 00000000A1B8: D3B14004 1802C160
	v_pk_mul_f32 v[6:7], v[98:99], v[98:99]                    // 00000000A1C0: D3B14006 1802C562
	v_pk_fma_f32 v[4:5], v[4:5], s[78:79], v[8:9]              // 00000000A1C8: D3B04004 1C209D04
	v_pk_fma_f32 v[6:7], v[6:7], s[78:79], v[8:9]              // 00000000A1D0: D3B04006 1C209D06
	v_pk_mul_f32 v[4:5], v[4:5], v[96:97]                      // 00000000A1D8: D3B14004 1802C104
	v_pk_mul_f32 v[6:7], v[6:7], v[98:99]                      // 00000000A1E0: D3B14006 1802C506
	v_pk_mul_f32 v[4:5], v[4:5], s[60:61]                      // 00000000A1E8: D3B14004 18007904
	v_pk_mul_f32 v[6:7], v[6:7], s[60:61]                      // 00000000A1F0: D3B14006 18007906
	v_exp_f32_e32 v4, v4                                       // 00000000A1F8: 7E084104
	v_exp_f32_e32 v5, v5                                       // 00000000A1FC: 7E0A4105
	v_exp_f32_e32 v6, v6                                       // 00000000A200: 7E0C4106
	v_exp_f32_e32 v7, v7                                       // 00000000A204: 7E0E4107
	v_add_f32_e64 v4, v4, 1.0                                  // 00000000A208: D1010004 0001E504
	v_add_f32_e64 v5, v5, 1.0                                  // 00000000A210: D1010005 0001E505
	v_add_f32_e64 v6, v6, 1.0                                  // 00000000A218: D1010006 0001E506
	v_add_f32_e64 v7, v7, 1.0                                  // 00000000A220: D1010007 0001E507
	v_rcp_f32_e32 v4, v4                                       // 00000000A228: 7E084504
	v_rcp_f32_e32 v5, v5                                       // 00000000A22C: 7E0A4505
	v_rcp_f32_e32 v6, v6                                       // 00000000A230: 7E0C4506
	v_rcp_f32_e32 v7, v7                                       // 00000000A234: 7E0E4507
	v_mul_f32_e32 v96, v96, v4                                 // 00000000A238: 0AC00960
	v_mul_f32_e32 v97, v97, v5                                 // 00000000A23C: 0AC20B61
	v_mul_f32_e32 v98, v98, v6                                 // 00000000A240: 0AC40D62
	v_mul_f32_e32 v99, v99, v7                                 // 00000000A244: 0AC60F63
	v_mul_f32_e32 v96, v96, v144                               // 00000000A248: 0AC12160
	v_mul_f32_e32 v97, v97, v145                               // 00000000A24C: 0AC32361
	v_mul_f32_e32 v98, v98, v146                               // 00000000A250: 0AC52562
	v_mul_f32_e32 v99, v99, v147                               // 00000000A254: 0AC72763
	s_branch label_1F9A                                        // 00000000A258: BF820180

000000000000a25c <label_1E1A>:
	v_mul_f32_e64 v4, -v52, s6                                 // 00000000A25C: D1050004 20000D34
	v_mul_f32_e64 v5, -v53, s6                                 // 00000000A264: D1050005 20000D35
	v_mul_f32_e64 v6, -v54, s6                                 // 00000000A26C: D1050006 20000D36
	v_mul_f32_e64 v7, -v55, s6                                 // 00000000A274: D1050007 20000D37
	v_exp_f32_e32 v4, v4                                       // 00000000A27C: 7E084104
	v_exp_f32_e32 v5, v5                                       // 00000000A280: 7E0A4105
	v_exp_f32_e32 v6, v6                                       // 00000000A284: 7E0C4106
	v_exp_f32_e32 v7, v7                                       // 00000000A288: 7E0E4107
	v_add_f32_e64 v4, v4, 1.0                                  // 00000000A28C: D1010004 0001E504
	v_add_f32_e64 v5, v5, 1.0                                  // 00000000A294: D1010005 0001E505
	v_add_f32_e64 v6, v6, 1.0                                  // 00000000A29C: D1010006 0001E506
	v_add_f32_e64 v7, v7, 1.0                                  // 00000000A2A4: D1010007 0001E507
	v_rcp_f32_e32 v4, v4                                       // 00000000A2AC: 7E084504
	v_rcp_f32_e32 v5, v5                                       // 00000000A2B0: 7E0A4505
	v_rcp_f32_e32 v6, v6                                       // 00000000A2B4: 7E0C4506
	v_rcp_f32_e32 v7, v7                                       // 00000000A2B8: 7E0E4507
	v_mul_f32_e32 v52, v52, v4                                 // 00000000A2BC: 0A680934
	v_mul_f32_e32 v53, v53, v5                                 // 00000000A2C0: 0A6A0B35
	v_mul_f32_e32 v54, v54, v6                                 // 00000000A2C4: 0A6C0D36
	v_mul_f32_e32 v55, v55, v7                                 // 00000000A2C8: 0A6E0F37
	v_mul_f32_e32 v52, v52, v100                               // 00000000A2CC: 0A68C934
	v_mul_f32_e32 v53, v53, v101                               // 00000000A2D0: 0A6ACB35
	v_mul_f32_e32 v54, v54, v102                               // 00000000A2D4: 0A6CCD36
	v_mul_f32_e32 v55, v55, v103                               // 00000000A2D8: 0A6ECF37
	v_mul_f32_e64 v4, -v56, s6                                 // 00000000A2DC: D1050004 20000D38
	v_mul_f32_e64 v5, -v57, s6                                 // 00000000A2E4: D1050005 20000D39
	v_mul_f32_e64 v6, -v58, s6                                 // 00000000A2EC: D1050006 20000D3A
	v_mul_f32_e64 v7, -v59, s6                                 // 00000000A2F4: D1050007 20000D3B
	v_exp_f32_e32 v4, v4                                       // 00000000A2FC: 7E084104
	v_exp_f32_e32 v5, v5                                       // 00000000A300: 7E0A4105
	v_exp_f32_e32 v6, v6                                       // 00000000A304: 7E0C4106
	v_exp_f32_e32 v7, v7                                       // 00000000A308: 7E0E4107
	v_add_f32_e64 v4, v4, 1.0                                  // 00000000A30C: D1010004 0001E504
	v_add_f32_e64 v5, v5, 1.0                                  // 00000000A314: D1010005 0001E505
	v_add_f32_e64 v6, v6, 1.0                                  // 00000000A31C: D1010006 0001E506
	v_add_f32_e64 v7, v7, 1.0                                  // 00000000A324: D1010007 0001E507
	v_rcp_f32_e32 v4, v4                                       // 00000000A32C: 7E084504
	v_rcp_f32_e32 v5, v5                                       // 00000000A330: 7E0A4505
	v_rcp_f32_e32 v6, v6                                       // 00000000A334: 7E0C4506
	v_rcp_f32_e32 v7, v7                                       // 00000000A338: 7E0E4507
	v_mul_f32_e32 v56, v56, v4                                 // 00000000A33C: 0A700938
	v_mul_f32_e32 v57, v57, v5                                 // 00000000A340: 0A720B39
	v_mul_f32_e32 v58, v58, v6                                 // 00000000A344: 0A740D3A
	v_mul_f32_e32 v59, v59, v7                                 // 00000000A348: 0A760F3B
	v_mul_f32_e32 v56, v56, v104                               // 00000000A34C: 0A70D138
	v_mul_f32_e32 v57, v57, v105                               // 00000000A350: 0A72D339
	v_mul_f32_e32 v58, v58, v106                               // 00000000A354: 0A74D53A
	v_mul_f32_e32 v59, v59, v107                               // 00000000A358: 0A76D73B
	v_mul_f32_e64 v4, -v60, s6                                 // 00000000A35C: D1050004 20000D3C
	v_mul_f32_e64 v5, -v61, s6                                 // 00000000A364: D1050005 20000D3D
	v_mul_f32_e64 v6, -v62, s6                                 // 00000000A36C: D1050006 20000D3E
	v_mul_f32_e64 v7, -v63, s6                                 // 00000000A374: D1050007 20000D3F
	v_exp_f32_e32 v4, v4                                       // 00000000A37C: 7E084104
	v_exp_f32_e32 v5, v5                                       // 00000000A380: 7E0A4105
	v_exp_f32_e32 v6, v6                                       // 00000000A384: 7E0C4106
	v_exp_f32_e32 v7, v7                                       // 00000000A388: 7E0E4107
	v_add_f32_e64 v4, v4, 1.0                                  // 00000000A38C: D1010004 0001E504
	v_add_f32_e64 v5, v5, 1.0                                  // 00000000A394: D1010005 0001E505
	v_add_f32_e64 v6, v6, 1.0                                  // 00000000A39C: D1010006 0001E506
	v_add_f32_e64 v7, v7, 1.0                                  // 00000000A3A4: D1010007 0001E507
	v_rcp_f32_e32 v4, v4                                       // 00000000A3AC: 7E084504
	v_rcp_f32_e32 v5, v5                                       // 00000000A3B0: 7E0A4505
	v_rcp_f32_e32 v6, v6                                       // 00000000A3B4: 7E0C4506
	v_rcp_f32_e32 v7, v7                                       // 00000000A3B8: 7E0E4507
	v_mul_f32_e32 v60, v60, v4                                 // 00000000A3BC: 0A78093C
	v_mul_f32_e32 v61, v61, v5                                 // 00000000A3C0: 0A7A0B3D
	v_mul_f32_e32 v62, v62, v6                                 // 00000000A3C4: 0A7C0D3E
	v_mul_f32_e32 v63, v63, v7                                 // 00000000A3C8: 0A7E0F3F
	v_mul_f32_e32 v60, v60, v108                               // 00000000A3CC: 0A78D93C
	v_mul_f32_e32 v61, v61, v109                               // 00000000A3D0: 0A7ADB3D
	v_mul_f32_e32 v62, v62, v110                               // 00000000A3D4: 0A7CDD3E
	v_mul_f32_e32 v63, v63, v111                               // 00000000A3D8: 0A7EDF3F
	v_mul_f32_e64 v4, -v64, s6                                 // 00000000A3DC: D1050004 20000D40
	v_mul_f32_e64 v5, -v65, s6                                 // 00000000A3E4: D1050005 20000D41
	v_mul_f32_e64 v6, -v66, s6                                 // 00000000A3EC: D1050006 20000D42
	v_mul_f32_e64 v7, -v67, s6                                 // 00000000A3F4: D1050007 20000D43
	v_exp_f32_e32 v4, v4                                       // 00000000A3FC: 7E084104
	v_exp_f32_e32 v5, v5                                       // 00000000A400: 7E0A4105
	v_exp_f32_e32 v6, v6                                       // 00000000A404: 7E0C4106
	v_exp_f32_e32 v7, v7                                       // 00000000A408: 7E0E4107
	v_add_f32_e64 v4, v4, 1.0                                  // 00000000A40C: D1010004 0001E504
	v_add_f32_e64 v5, v5, 1.0                                  // 00000000A414: D1010005 0001E505
	v_add_f32_e64 v6, v6, 1.0                                  // 00000000A41C: D1010006 0001E506
	v_add_f32_e64 v7, v7, 1.0                                  // 00000000A424: D1010007 0001E507
	v_rcp_f32_e32 v4, v4                                       // 00000000A42C: 7E084504
	v_rcp_f32_e32 v5, v5                                       // 00000000A430: 7E0A4505
	v_rcp_f32_e32 v6, v6                                       // 00000000A434: 7E0C4506
	v_rcp_f32_e32 v7, v7                                       // 00000000A438: 7E0E4507
	v_mul_f32_e32 v64, v64, v4                                 // 00000000A43C: 0A800940
	v_mul_f32_e32 v65, v65, v5                                 // 00000000A440: 0A820B41
	v_mul_f32_e32 v66, v66, v6                                 // 00000000A444: 0A840D42
	v_mul_f32_e32 v67, v67, v7                                 // 00000000A448: 0A860F43
	v_mul_f32_e32 v64, v64, v112                               // 00000000A44C: 0A80E140
	v_mul_f32_e32 v65, v65, v113                               // 00000000A450: 0A82E341
	v_mul_f32_e32 v66, v66, v114                               // 00000000A454: 0A84E542
	v_mul_f32_e32 v67, v67, v115                               // 00000000A458: 0A86E743
	v_mul_f32_e64 v4, -v68, s6                                 // 00000000A45C: D1050004 20000D44
	v_mul_f32_e64 v5, -v69, s6                                 // 00000000A464: D1050005 20000D45
	v_mul_f32_e64 v6, -v70, s6                                 // 00000000A46C: D1050006 20000D46
	v_mul_f32_e64 v7, -v71, s6                                 // 00000000A474: D1050007 20000D47
	v_exp_f32_e32 v4, v4                                       // 00000000A47C: 7E084104
	v_exp_f32_e32 v5, v5                                       // 00000000A480: 7E0A4105
	v_exp_f32_e32 v6, v6                                       // 00000000A484: 7E0C4106
	v_exp_f32_e32 v7, v7                                       // 00000000A488: 7E0E4107
	v_add_f32_e64 v4, v4, 1.0                                  // 00000000A48C: D1010004 0001E504
	v_add_f32_e64 v5, v5, 1.0                                  // 00000000A494: D1010005 0001E505
	v_add_f32_e64 v6, v6, 1.0                                  // 00000000A49C: D1010006 0001E506
	v_add_f32_e64 v7, v7, 1.0                                  // 00000000A4A4: D1010007 0001E507
	v_rcp_f32_e32 v4, v4                                       // 00000000A4AC: 7E084504
	v_rcp_f32_e32 v5, v5                                       // 00000000A4B0: 7E0A4505
	v_rcp_f32_e32 v6, v6                                       // 00000000A4B4: 7E0C4506
	v_rcp_f32_e32 v7, v7                                       // 00000000A4B8: 7E0E4507
	v_mul_f32_e32 v68, v68, v4                                 // 00000000A4BC: 0A880944
	v_mul_f32_e32 v69, v69, v5                                 // 00000000A4C0: 0A8A0B45
	v_mul_f32_e32 v70, v70, v6                                 // 00000000A4C4: 0A8C0D46
	v_mul_f32_e32 v71, v71, v7                                 // 00000000A4C8: 0A8E0F47
	v_mul_f32_e32 v68, v68, v116                               // 00000000A4CC: 0A88E944
	v_mul_f32_e32 v69, v69, v117                               // 00000000A4D0: 0A8AEB45
	v_mul_f32_e32 v70, v70, v118                               // 00000000A4D4: 0A8CED46
	v_mul_f32_e32 v71, v71, v119                               // 00000000A4D8: 0A8EEF47
	v_mul_f32_e64 v4, -v72, s6                                 // 00000000A4DC: D1050004 20000D48
	v_mul_f32_e64 v5, -v73, s6                                 // 00000000A4E4: D1050005 20000D49
	v_mul_f32_e64 v6, -v74, s6                                 // 00000000A4EC: D1050006 20000D4A
	v_mul_f32_e64 v7, -v75, s6                                 // 00000000A4F4: D1050007 20000D4B
	v_exp_f32_e32 v4, v4                                       // 00000000A4FC: 7E084104
	v_exp_f32_e32 v5, v5                                       // 00000000A500: 7E0A4105
	v_exp_f32_e32 v6, v6                                       // 00000000A504: 7E0C4106
	v_exp_f32_e32 v7, v7                                       // 00000000A508: 7E0E4107
	v_add_f32_e64 v4, v4, 1.0                                  // 00000000A50C: D1010004 0001E504
	v_add_f32_e64 v5, v5, 1.0                                  // 00000000A514: D1010005 0001E505
	v_add_f32_e64 v6, v6, 1.0                                  // 00000000A51C: D1010006 0001E506
	v_add_f32_e64 v7, v7, 1.0                                  // 00000000A524: D1010007 0001E507
	v_rcp_f32_e32 v4, v4                                       // 00000000A52C: 7E084504
	v_rcp_f32_e32 v5, v5                                       // 00000000A530: 7E0A4505
	v_rcp_f32_e32 v6, v6                                       // 00000000A534: 7E0C4506
	v_rcp_f32_e32 v7, v7                                       // 00000000A538: 7E0E4507
	v_mul_f32_e32 v72, v72, v4                                 // 00000000A53C: 0A900948
	v_mul_f32_e32 v73, v73, v5                                 // 00000000A540: 0A920B49
	v_mul_f32_e32 v74, v74, v6                                 // 00000000A544: 0A940D4A
	v_mul_f32_e32 v75, v75, v7                                 // 00000000A548: 0A960F4B
	v_mul_f32_e32 v72, v72, v120                               // 00000000A54C: 0A90F148
	v_mul_f32_e32 v73, v73, v121                               // 00000000A550: 0A92F349
	v_mul_f32_e32 v74, v74, v122                               // 00000000A554: 0A94F54A
	v_mul_f32_e32 v75, v75, v123                               // 00000000A558: 0A96F74B
	v_mul_f32_e64 v4, -v76, s6                                 // 00000000A55C: D1050004 20000D4C
	v_mul_f32_e64 v5, -v77, s6                                 // 00000000A564: D1050005 20000D4D
	v_mul_f32_e64 v6, -v78, s6                                 // 00000000A56C: D1050006 20000D4E
	v_mul_f32_e64 v7, -v79, s6                                 // 00000000A574: D1050007 20000D4F
	v_exp_f32_e32 v4, v4                                       // 00000000A57C: 7E084104
	v_exp_f32_e32 v5, v5                                       // 00000000A580: 7E0A4105
	v_exp_f32_e32 v6, v6                                       // 00000000A584: 7E0C4106
	v_exp_f32_e32 v7, v7                                       // 00000000A588: 7E0E4107
	v_add_f32_e64 v4, v4, 1.0                                  // 00000000A58C: D1010004 0001E504
	v_add_f32_e64 v5, v5, 1.0                                  // 00000000A594: D1010005 0001E505
	v_add_f32_e64 v6, v6, 1.0                                  // 00000000A59C: D1010006 0001E506
	v_add_f32_e64 v7, v7, 1.0                                  // 00000000A5A4: D1010007 0001E507
	v_rcp_f32_e32 v4, v4                                       // 00000000A5AC: 7E084504
	v_rcp_f32_e32 v5, v5                                       // 00000000A5B0: 7E0A4505
	v_rcp_f32_e32 v6, v6                                       // 00000000A5B4: 7E0C4506
	v_rcp_f32_e32 v7, v7                                       // 00000000A5B8: 7E0E4507
	v_mul_f32_e32 v76, v76, v4                                 // 00000000A5BC: 0A98094C
	v_mul_f32_e32 v77, v77, v5                                 // 00000000A5C0: 0A9A0B4D
	v_mul_f32_e32 v78, v78, v6                                 // 00000000A5C4: 0A9C0D4E
	v_mul_f32_e32 v79, v79, v7                                 // 00000000A5C8: 0A9E0F4F
	v_mul_f32_e32 v76, v76, v124                               // 00000000A5CC: 0A98F94C
	v_mul_f32_e32 v77, v77, v125                               // 00000000A5D0: 0A9AFB4D
	v_mul_f32_e32 v78, v78, v126                               // 00000000A5D4: 0A9CFD4E
	v_mul_f32_e32 v79, v79, v127                               // 00000000A5D8: 0A9EFF4F
	v_mul_f32_e64 v4, -v80, s6                                 // 00000000A5DC: D1050004 20000D50
	v_mul_f32_e64 v5, -v81, s6                                 // 00000000A5E4: D1050005 20000D51
	v_mul_f32_e64 v6, -v82, s6                                 // 00000000A5EC: D1050006 20000D52
	v_mul_f32_e64 v7, -v83, s6                                 // 00000000A5F4: D1050007 20000D53
	v_exp_f32_e32 v4, v4                                       // 00000000A5FC: 7E084104
	v_exp_f32_e32 v5, v5                                       // 00000000A600: 7E0A4105
	v_exp_f32_e32 v6, v6                                       // 00000000A604: 7E0C4106
	v_exp_f32_e32 v7, v7                                       // 00000000A608: 7E0E4107
	v_add_f32_e64 v4, v4, 1.0                                  // 00000000A60C: D1010004 0001E504
	v_add_f32_e64 v5, v5, 1.0                                  // 00000000A614: D1010005 0001E505
	v_add_f32_e64 v6, v6, 1.0                                  // 00000000A61C: D1010006 0001E506
	v_add_f32_e64 v7, v7, 1.0                                  // 00000000A624: D1010007 0001E507
	v_rcp_f32_e32 v4, v4                                       // 00000000A62C: 7E084504
	v_rcp_f32_e32 v5, v5                                       // 00000000A630: 7E0A4505
	v_rcp_f32_e32 v6, v6                                       // 00000000A634: 7E0C4506
	v_rcp_f32_e32 v7, v7                                       // 00000000A638: 7E0E4507
	v_mul_f32_e32 v80, v80, v4                                 // 00000000A63C: 0AA00950
	v_mul_f32_e32 v81, v81, v5                                 // 00000000A640: 0AA20B51
	v_mul_f32_e32 v82, v82, v6                                 // 00000000A644: 0AA40D52
	v_mul_f32_e32 v83, v83, v7                                 // 00000000A648: 0AA60F53
	v_mul_f32_e32 v80, v80, v128                               // 00000000A64C: 0AA10150
	v_mul_f32_e32 v81, v81, v129                               // 00000000A650: 0AA30351
	v_mul_f32_e32 v82, v82, v130                               // 00000000A654: 0AA50552
	v_mul_f32_e32 v83, v83, v131                               // 00000000A658: 0AA70753
	v_mul_f32_e64 v4, -v84, s6                                 // 00000000A65C: D1050004 20000D54
	v_mul_f32_e64 v5, -v85, s6                                 // 00000000A664: D1050005 20000D55
	v_mul_f32_e64 v6, -v86, s6                                 // 00000000A66C: D1050006 20000D56
	v_mul_f32_e64 v7, -v87, s6                                 // 00000000A674: D1050007 20000D57
	v_exp_f32_e32 v4, v4                                       // 00000000A67C: 7E084104
	v_exp_f32_e32 v5, v5                                       // 00000000A680: 7E0A4105
	v_exp_f32_e32 v6, v6                                       // 00000000A684: 7E0C4106
	v_exp_f32_e32 v7, v7                                       // 00000000A688: 7E0E4107
	v_add_f32_e64 v4, v4, 1.0                                  // 00000000A68C: D1010004 0001E504
	v_add_f32_e64 v5, v5, 1.0                                  // 00000000A694: D1010005 0001E505
	v_add_f32_e64 v6, v6, 1.0                                  // 00000000A69C: D1010006 0001E506
	v_add_f32_e64 v7, v7, 1.0                                  // 00000000A6A4: D1010007 0001E507
	v_rcp_f32_e32 v4, v4                                       // 00000000A6AC: 7E084504
	v_rcp_f32_e32 v5, v5                                       // 00000000A6B0: 7E0A4505
	v_rcp_f32_e32 v6, v6                                       // 00000000A6B4: 7E0C4506
	v_rcp_f32_e32 v7, v7                                       // 00000000A6B8: 7E0E4507
	v_mul_f32_e32 v84, v84, v4                                 // 00000000A6BC: 0AA80954
	v_mul_f32_e32 v85, v85, v5                                 // 00000000A6C0: 0AAA0B55
	v_mul_f32_e32 v86, v86, v6                                 // 00000000A6C4: 0AAC0D56
	v_mul_f32_e32 v87, v87, v7                                 // 00000000A6C8: 0AAE0F57
	v_mul_f32_e32 v84, v84, v132                               // 00000000A6CC: 0AA90954
	v_mul_f32_e32 v85, v85, v133                               // 00000000A6D0: 0AAB0B55
	v_mul_f32_e32 v86, v86, v134                               // 00000000A6D4: 0AAD0D56
	v_mul_f32_e32 v87, v87, v135                               // 00000000A6D8: 0AAF0F57
	v_mul_f32_e64 v4, -v88, s6                                 // 00000000A6DC: D1050004 20000D58
	v_mul_f32_e64 v5, -v89, s6                                 // 00000000A6E4: D1050005 20000D59
	v_mul_f32_e64 v6, -v90, s6                                 // 00000000A6EC: D1050006 20000D5A
	v_mul_f32_e64 v7, -v91, s6                                 // 00000000A6F4: D1050007 20000D5B
	v_exp_f32_e32 v4, v4                                       // 00000000A6FC: 7E084104
	v_exp_f32_e32 v5, v5                                       // 00000000A700: 7E0A4105
	v_exp_f32_e32 v6, v6                                       // 00000000A704: 7E0C4106
	v_exp_f32_e32 v7, v7                                       // 00000000A708: 7E0E4107
	v_add_f32_e64 v4, v4, 1.0                                  // 00000000A70C: D1010004 0001E504
	v_add_f32_e64 v5, v5, 1.0                                  // 00000000A714: D1010005 0001E505
	v_add_f32_e64 v6, v6, 1.0                                  // 00000000A71C: D1010006 0001E506
	v_add_f32_e64 v7, v7, 1.0                                  // 00000000A724: D1010007 0001E507
	v_rcp_f32_e32 v4, v4                                       // 00000000A72C: 7E084504
	v_rcp_f32_e32 v5, v5                                       // 00000000A730: 7E0A4505
	v_rcp_f32_e32 v6, v6                                       // 00000000A734: 7E0C4506
	v_rcp_f32_e32 v7, v7                                       // 00000000A738: 7E0E4507
	v_mul_f32_e32 v88, v88, v4                                 // 00000000A73C: 0AB00958
	v_mul_f32_e32 v89, v89, v5                                 // 00000000A740: 0AB20B59
	v_mul_f32_e32 v90, v90, v6                                 // 00000000A744: 0AB40D5A
	v_mul_f32_e32 v91, v91, v7                                 // 00000000A748: 0AB60F5B
	v_mul_f32_e32 v88, v88, v136                               // 00000000A74C: 0AB11158
	v_mul_f32_e32 v89, v89, v137                               // 00000000A750: 0AB31359
	v_mul_f32_e32 v90, v90, v138                               // 00000000A754: 0AB5155A
	v_mul_f32_e32 v91, v91, v139                               // 00000000A758: 0AB7175B
	v_mul_f32_e64 v4, -v92, s6                                 // 00000000A75C: D1050004 20000D5C
	v_mul_f32_e64 v5, -v93, s6                                 // 00000000A764: D1050005 20000D5D
	v_mul_f32_e64 v6, -v94, s6                                 // 00000000A76C: D1050006 20000D5E
	v_mul_f32_e64 v7, -v95, s6                                 // 00000000A774: D1050007 20000D5F
	v_exp_f32_e32 v4, v4                                       // 00000000A77C: 7E084104
	v_exp_f32_e32 v5, v5                                       // 00000000A780: 7E0A4105
	v_exp_f32_e32 v6, v6                                       // 00000000A784: 7E0C4106
	v_exp_f32_e32 v7, v7                                       // 00000000A788: 7E0E4107
	v_add_f32_e64 v4, v4, 1.0                                  // 00000000A78C: D1010004 0001E504
	v_add_f32_e64 v5, v5, 1.0                                  // 00000000A794: D1010005 0001E505
	v_add_f32_e64 v6, v6, 1.0                                  // 00000000A79C: D1010006 0001E506
	v_add_f32_e64 v7, v7, 1.0                                  // 00000000A7A4: D1010007 0001E507
	v_rcp_f32_e32 v4, v4                                       // 00000000A7AC: 7E084504
	v_rcp_f32_e32 v5, v5                                       // 00000000A7B0: 7E0A4505
	v_rcp_f32_e32 v6, v6                                       // 00000000A7B4: 7E0C4506
	v_rcp_f32_e32 v7, v7                                       // 00000000A7B8: 7E0E4507
	v_mul_f32_e32 v92, v92, v4                                 // 00000000A7BC: 0AB8095C
	v_mul_f32_e32 v93, v93, v5                                 // 00000000A7C0: 0ABA0B5D
	v_mul_f32_e32 v94, v94, v6                                 // 00000000A7C4: 0ABC0D5E
	v_mul_f32_e32 v95, v95, v7                                 // 00000000A7C8: 0ABE0F5F
	v_mul_f32_e32 v92, v92, v140                               // 00000000A7CC: 0AB9195C
	v_mul_f32_e32 v93, v93, v141                               // 00000000A7D0: 0ABB1B5D
	v_mul_f32_e32 v94, v94, v142                               // 00000000A7D4: 0ABD1D5E
	v_mul_f32_e32 v95, v95, v143                               // 00000000A7D8: 0ABF1F5F
	v_mul_f32_e64 v4, -v96, s6                                 // 00000000A7DC: D1050004 20000D60
	v_mul_f32_e64 v5, -v97, s6                                 // 00000000A7E4: D1050005 20000D61
	v_mul_f32_e64 v6, -v98, s6                                 // 00000000A7EC: D1050006 20000D62
	v_mul_f32_e64 v7, -v99, s6                                 // 00000000A7F4: D1050007 20000D63
	v_exp_f32_e32 v4, v4                                       // 00000000A7FC: 7E084104
	v_exp_f32_e32 v5, v5                                       // 00000000A800: 7E0A4105
	v_exp_f32_e32 v6, v6                                       // 00000000A804: 7E0C4106
	v_exp_f32_e32 v7, v7                                       // 00000000A808: 7E0E4107
	v_add_f32_e64 v4, v4, 1.0                                  // 00000000A80C: D1010004 0001E504
	v_add_f32_e64 v5, v5, 1.0                                  // 00000000A814: D1010005 0001E505
	v_add_f32_e64 v6, v6, 1.0                                  // 00000000A81C: D1010006 0001E506
	v_add_f32_e64 v7, v7, 1.0                                  // 00000000A824: D1010007 0001E507
	v_rcp_f32_e32 v4, v4                                       // 00000000A82C: 7E084504
	v_rcp_f32_e32 v5, v5                                       // 00000000A830: 7E0A4505
	v_rcp_f32_e32 v6, v6                                       // 00000000A834: 7E0C4506
	v_rcp_f32_e32 v7, v7                                       // 00000000A838: 7E0E4507
	v_mul_f32_e32 v96, v96, v4                                 // 00000000A83C: 0AC00960
	v_mul_f32_e32 v97, v97, v5                                 // 00000000A840: 0AC20B61
	v_mul_f32_e32 v98, v98, v6                                 // 00000000A844: 0AC40D62
	v_mul_f32_e32 v99, v99, v7                                 // 00000000A848: 0AC60F63
	v_mul_f32_e32 v96, v96, v144                               // 00000000A84C: 0AC12160
	v_mul_f32_e32 v97, v97, v145                               // 00000000A850: 0AC32361
	v_mul_f32_e32 v98, v98, v146                               // 00000000A854: 0AC52562
	v_mul_f32_e32 v99, v99, v147                               // 00000000A858: 0AC72763

000000000000a85c <label_1F9A>:
	v_cmp_u_f32_e64 s[46:47], v52, v52                         // 00000000A85C: D048002E 00026934
	v_add3_u32 v16, v52, v19, 1                                // 00000000A864: D1FF0010 02062734
	v_cndmask_b32_e64 v4, v16, v18, s[46:47]                   // 00000000A86C: D1000004 00BA2510
	v_cmp_u_f32_e64 s[46:47], v53, v53                         // 00000000A874: D048002E 00026B35
	v_add3_u32 v16, v53, v19, 1                                // 00000000A87C: D1FF0010 02062735
	v_cndmask_b32_e64 v5, v16, v18, s[46:47]                   // 00000000A884: D1000005 00BA2510
	v_perm_b32 v52, v5, v4, s52                                // 00000000A88C: D1ED0034 00D20905
	v_cmp_u_f32_e64 s[46:47], v54, v54                         // 00000000A894: D048002E 00026D36
	v_add3_u32 v16, v54, v19, 1                                // 00000000A89C: D1FF0010 02062736
	v_cndmask_b32_e64 v4, v16, v18, s[46:47]                   // 00000000A8A4: D1000004 00BA2510
	v_cmp_u_f32_e64 s[46:47], v55, v55                         // 00000000A8AC: D048002E 00026F37
	v_add3_u32 v16, v55, v19, 1                                // 00000000A8B4: D1FF0010 02062737
	v_cndmask_b32_e64 v5, v16, v18, s[46:47]                   // 00000000A8BC: D1000005 00BA2510
	v_perm_b32 v53, v5, v4, s52                                // 00000000A8C4: D1ED0035 00D20905
	v_cmp_u_f32_e64 s[46:47], v56, v56                         // 00000000A8CC: D048002E 00027138
	v_add3_u32 v16, v56, v19, 1                                // 00000000A8D4: D1FF0010 02062738
	v_cndmask_b32_e64 v4, v16, v18, s[46:47]                   // 00000000A8DC: D1000004 00BA2510
	v_cmp_u_f32_e64 s[46:47], v57, v57                         // 00000000A8E4: D048002E 00027339
	v_add3_u32 v16, v57, v19, 1                                // 00000000A8EC: D1FF0010 02062739
	v_cndmask_b32_e64 v5, v16, v18, s[46:47]                   // 00000000A8F4: D1000005 00BA2510
	v_perm_b32 v54, v5, v4, s52                                // 00000000A8FC: D1ED0036 00D20905
	v_cmp_u_f32_e64 s[46:47], v58, v58                         // 00000000A904: D048002E 0002753A
	v_add3_u32 v16, v58, v19, 1                                // 00000000A90C: D1FF0010 0206273A
	v_cndmask_b32_e64 v4, v16, v18, s[46:47]                   // 00000000A914: D1000004 00BA2510
	v_cmp_u_f32_e64 s[46:47], v59, v59                         // 00000000A91C: D048002E 0002773B
	v_add3_u32 v16, v59, v19, 1                                // 00000000A924: D1FF0010 0206273B
	v_cndmask_b32_e64 v5, v16, v18, s[46:47]                   // 00000000A92C: D1000005 00BA2510
	v_perm_b32 v55, v5, v4, s52                                // 00000000A934: D1ED0037 00D20905
	v_cmp_u_f32_e64 s[46:47], v60, v60                         // 00000000A93C: D048002E 0002793C
	v_add3_u32 v16, v60, v19, 1                                // 00000000A944: D1FF0010 0206273C
	v_cndmask_b32_e64 v4, v16, v18, s[46:47]                   // 00000000A94C: D1000004 00BA2510
	v_cmp_u_f32_e64 s[46:47], v61, v61                         // 00000000A954: D048002E 00027B3D
	v_add3_u32 v16, v61, v19, 1                                // 00000000A95C: D1FF0010 0206273D
	v_cndmask_b32_e64 v5, v16, v18, s[46:47]                   // 00000000A964: D1000005 00BA2510
	v_perm_b32 v56, v5, v4, s52                                // 00000000A96C: D1ED0038 00D20905
	v_cmp_u_f32_e64 s[46:47], v62, v62                         // 00000000A974: D048002E 00027D3E
	v_add3_u32 v16, v62, v19, 1                                // 00000000A97C: D1FF0010 0206273E
	v_cndmask_b32_e64 v4, v16, v18, s[46:47]                   // 00000000A984: D1000004 00BA2510
	v_cmp_u_f32_e64 s[46:47], v63, v63                         // 00000000A98C: D048002E 00027F3F
	v_add3_u32 v16, v63, v19, 1                                // 00000000A994: D1FF0010 0206273F
	v_cndmask_b32_e64 v5, v16, v18, s[46:47]                   // 00000000A99C: D1000005 00BA2510
	v_perm_b32 v57, v5, v4, s52                                // 00000000A9A4: D1ED0039 00D20905
	v_cmp_u_f32_e64 s[46:47], v64, v64                         // 00000000A9AC: D048002E 00028140
	v_add3_u32 v16, v64, v19, 1                                // 00000000A9B4: D1FF0010 02062740
	v_cndmask_b32_e64 v4, v16, v18, s[46:47]                   // 00000000A9BC: D1000004 00BA2510
	v_cmp_u_f32_e64 s[46:47], v65, v65                         // 00000000A9C4: D048002E 00028341
	v_add3_u32 v16, v65, v19, 1                                // 00000000A9CC: D1FF0010 02062741
	v_cndmask_b32_e64 v5, v16, v18, s[46:47]                   // 00000000A9D4: D1000005 00BA2510
	v_perm_b32 v58, v5, v4, s52                                // 00000000A9DC: D1ED003A 00D20905
	v_cmp_u_f32_e64 s[46:47], v66, v66                         // 00000000A9E4: D048002E 00028542
	v_add3_u32 v16, v66, v19, 1                                // 00000000A9EC: D1FF0010 02062742
	v_cndmask_b32_e64 v4, v16, v18, s[46:47]                   // 00000000A9F4: D1000004 00BA2510
	v_cmp_u_f32_e64 s[46:47], v67, v67                         // 00000000A9FC: D048002E 00028743
	v_add3_u32 v16, v67, v19, 1                                // 00000000AA04: D1FF0010 02062743
	v_cndmask_b32_e64 v5, v16, v18, s[46:47]                   // 00000000AA0C: D1000005 00BA2510
	v_perm_b32 v59, v5, v4, s52                                // 00000000AA14: D1ED003B 00D20905
	v_cmp_u_f32_e64 s[46:47], v68, v68                         // 00000000AA1C: D048002E 00028944
	v_add3_u32 v16, v68, v19, 1                                // 00000000AA24: D1FF0010 02062744
	v_cndmask_b32_e64 v4, v16, v18, s[46:47]                   // 00000000AA2C: D1000004 00BA2510
	v_cmp_u_f32_e64 s[46:47], v69, v69                         // 00000000AA34: D048002E 00028B45
	v_add3_u32 v16, v69, v19, 1                                // 00000000AA3C: D1FF0010 02062745
	v_cndmask_b32_e64 v5, v16, v18, s[46:47]                   // 00000000AA44: D1000005 00BA2510
	v_perm_b32 v60, v5, v4, s52                                // 00000000AA4C: D1ED003C 00D20905
	v_cmp_u_f32_e64 s[46:47], v70, v70                         // 00000000AA54: D048002E 00028D46
	v_add3_u32 v16, v70, v19, 1                                // 00000000AA5C: D1FF0010 02062746
	v_cndmask_b32_e64 v4, v16, v18, s[46:47]                   // 00000000AA64: D1000004 00BA2510
	v_cmp_u_f32_e64 s[46:47], v71, v71                         // 00000000AA6C: D048002E 00028F47
	v_add3_u32 v16, v71, v19, 1                                // 00000000AA74: D1FF0010 02062747
	v_cndmask_b32_e64 v5, v16, v18, s[46:47]                   // 00000000AA7C: D1000005 00BA2510
	v_perm_b32 v61, v5, v4, s52                                // 00000000AA84: D1ED003D 00D20905
	v_cmp_u_f32_e64 s[46:47], v72, v72                         // 00000000AA8C: D048002E 00029148
	v_add3_u32 v16, v72, v19, 1                                // 00000000AA94: D1FF0010 02062748
	v_cndmask_b32_e64 v4, v16, v18, s[46:47]                   // 00000000AA9C: D1000004 00BA2510
	v_cmp_u_f32_e64 s[46:47], v73, v73                         // 00000000AAA4: D048002E 00029349
	v_add3_u32 v16, v73, v19, 1                                // 00000000AAAC: D1FF0010 02062749
	v_cndmask_b32_e64 v5, v16, v18, s[46:47]                   // 00000000AAB4: D1000005 00BA2510
	v_perm_b32 v62, v5, v4, s52                                // 00000000AABC: D1ED003E 00D20905
	v_cmp_u_f32_e64 s[46:47], v74, v74                         // 00000000AAC4: D048002E 0002954A
	v_add3_u32 v16, v74, v19, 1                                // 00000000AACC: D1FF0010 0206274A
	v_cndmask_b32_e64 v4, v16, v18, s[46:47]                   // 00000000AAD4: D1000004 00BA2510
	v_cmp_u_f32_e64 s[46:47], v75, v75                         // 00000000AADC: D048002E 0002974B
	v_add3_u32 v16, v75, v19, 1                                // 00000000AAE4: D1FF0010 0206274B
	v_cndmask_b32_e64 v5, v16, v18, s[46:47]                   // 00000000AAEC: D1000005 00BA2510
	v_perm_b32 v63, v5, v4, s52                                // 00000000AAF4: D1ED003F 00D20905
	v_cmp_u_f32_e64 s[46:47], v76, v76                         // 00000000AAFC: D048002E 0002994C
	v_add3_u32 v16, v76, v19, 1                                // 00000000AB04: D1FF0010 0206274C
	v_cndmask_b32_e64 v4, v16, v18, s[46:47]                   // 00000000AB0C: D1000004 00BA2510
	v_cmp_u_f32_e64 s[46:47], v77, v77                         // 00000000AB14: D048002E 00029B4D
	v_add3_u32 v16, v77, v19, 1                                // 00000000AB1C: D1FF0010 0206274D
	v_cndmask_b32_e64 v5, v16, v18, s[46:47]                   // 00000000AB24: D1000005 00BA2510
	v_perm_b32 v64, v5, v4, s52                                // 00000000AB2C: D1ED0040 00D20905
	v_cmp_u_f32_e64 s[46:47], v78, v78                         // 00000000AB34: D048002E 00029D4E
	v_add3_u32 v16, v78, v19, 1                                // 00000000AB3C: D1FF0010 0206274E
	v_cndmask_b32_e64 v4, v16, v18, s[46:47]                   // 00000000AB44: D1000004 00BA2510
	v_cmp_u_f32_e64 s[46:47], v79, v79                         // 00000000AB4C: D048002E 00029F4F
	v_add3_u32 v16, v79, v19, 1                                // 00000000AB54: D1FF0010 0206274F
	v_cndmask_b32_e64 v5, v16, v18, s[46:47]                   // 00000000AB5C: D1000005 00BA2510
	v_perm_b32 v65, v5, v4, s52                                // 00000000AB64: D1ED0041 00D20905
	v_cmp_u_f32_e64 s[46:47], v80, v80                         // 00000000AB6C: D048002E 0002A150
	v_add3_u32 v16, v80, v19, 1                                // 00000000AB74: D1FF0010 02062750
	v_cndmask_b32_e64 v4, v16, v18, s[46:47]                   // 00000000AB7C: D1000004 00BA2510
	v_cmp_u_f32_e64 s[46:47], v81, v81                         // 00000000AB84: D048002E 0002A351
	v_add3_u32 v16, v81, v19, 1                                // 00000000AB8C: D1FF0010 02062751
	v_cndmask_b32_e64 v5, v16, v18, s[46:47]                   // 00000000AB94: D1000005 00BA2510
	v_perm_b32 v66, v5, v4, s52                                // 00000000AB9C: D1ED0042 00D20905
	v_cmp_u_f32_e64 s[46:47], v82, v82                         // 00000000ABA4: D048002E 0002A552
	v_add3_u32 v16, v82, v19, 1                                // 00000000ABAC: D1FF0010 02062752
	v_cndmask_b32_e64 v4, v16, v18, s[46:47]                   // 00000000ABB4: D1000004 00BA2510
	v_cmp_u_f32_e64 s[46:47], v83, v83                         // 00000000ABBC: D048002E 0002A753
	v_add3_u32 v16, v83, v19, 1                                // 00000000ABC4: D1FF0010 02062753
	v_cndmask_b32_e64 v5, v16, v18, s[46:47]                   // 00000000ABCC: D1000005 00BA2510
	v_perm_b32 v67, v5, v4, s52                                // 00000000ABD4: D1ED0043 00D20905
	v_cmp_u_f32_e64 s[46:47], v84, v84                         // 00000000ABDC: D048002E 0002A954
	v_add3_u32 v16, v84, v19, 1                                // 00000000ABE4: D1FF0010 02062754
	v_cndmask_b32_e64 v4, v16, v18, s[46:47]                   // 00000000ABEC: D1000004 00BA2510
	v_cmp_u_f32_e64 s[46:47], v85, v85                         // 00000000ABF4: D048002E 0002AB55
	v_add3_u32 v16, v85, v19, 1                                // 00000000ABFC: D1FF0010 02062755
	v_cndmask_b32_e64 v5, v16, v18, s[46:47]                   // 00000000AC04: D1000005 00BA2510
	v_perm_b32 v68, v5, v4, s52                                // 00000000AC0C: D1ED0044 00D20905
	v_cmp_u_f32_e64 s[46:47], v86, v86                         // 00000000AC14: D048002E 0002AD56
	v_add3_u32 v16, v86, v19, 1                                // 00000000AC1C: D1FF0010 02062756
	v_cndmask_b32_e64 v4, v16, v18, s[46:47]                   // 00000000AC24: D1000004 00BA2510
	v_cmp_u_f32_e64 s[46:47], v87, v87                         // 00000000AC2C: D048002E 0002AF57
	v_add3_u32 v16, v87, v19, 1                                // 00000000AC34: D1FF0010 02062757
	v_cndmask_b32_e64 v5, v16, v18, s[46:47]                   // 00000000AC3C: D1000005 00BA2510
	v_perm_b32 v69, v5, v4, s52                                // 00000000AC44: D1ED0045 00D20905
	v_cmp_u_f32_e64 s[46:47], v88, v88                         // 00000000AC4C: D048002E 0002B158
	v_add3_u32 v16, v88, v19, 1                                // 00000000AC54: D1FF0010 02062758
	v_cndmask_b32_e64 v4, v16, v18, s[46:47]                   // 00000000AC5C: D1000004 00BA2510
	v_cmp_u_f32_e64 s[46:47], v89, v89                         // 00000000AC64: D048002E 0002B359
	v_add3_u32 v16, v89, v19, 1                                // 00000000AC6C: D1FF0010 02062759
	v_cndmask_b32_e64 v5, v16, v18, s[46:47]                   // 00000000AC74: D1000005 00BA2510
	v_perm_b32 v70, v5, v4, s52                                // 00000000AC7C: D1ED0046 00D20905
	v_cmp_u_f32_e64 s[46:47], v90, v90                         // 00000000AC84: D048002E 0002B55A
	v_add3_u32 v16, v90, v19, 1                                // 00000000AC8C: D1FF0010 0206275A
	v_cndmask_b32_e64 v4, v16, v18, s[46:47]                   // 00000000AC94: D1000004 00BA2510
	v_cmp_u_f32_e64 s[46:47], v91, v91                         // 00000000AC9C: D048002E 0002B75B
	v_add3_u32 v16, v91, v19, 1                                // 00000000ACA4: D1FF0010 0206275B
	v_cndmask_b32_e64 v5, v16, v18, s[46:47]                   // 00000000ACAC: D1000005 00BA2510
	v_perm_b32 v71, v5, v4, s52                                // 00000000ACB4: D1ED0047 00D20905
	v_cmp_u_f32_e64 s[46:47], v92, v92                         // 00000000ACBC: D048002E 0002B95C
	v_add3_u32 v16, v92, v19, 1                                // 00000000ACC4: D1FF0010 0206275C
	v_cndmask_b32_e64 v4, v16, v18, s[46:47]                   // 00000000ACCC: D1000004 00BA2510
	v_cmp_u_f32_e64 s[46:47], v93, v93                         // 00000000ACD4: D048002E 0002BB5D
	v_add3_u32 v16, v93, v19, 1                                // 00000000ACDC: D1FF0010 0206275D
	v_cndmask_b32_e64 v5, v16, v18, s[46:47]                   // 00000000ACE4: D1000005 00BA2510
	v_perm_b32 v72, v5, v4, s52                                // 00000000ACEC: D1ED0048 00D20905
	v_cmp_u_f32_e64 s[46:47], v94, v94                         // 00000000ACF4: D048002E 0002BD5E
	v_add3_u32 v16, v94, v19, 1                                // 00000000ACFC: D1FF0010 0206275E
	v_cndmask_b32_e64 v4, v16, v18, s[46:47]                   // 00000000AD04: D1000004 00BA2510
	v_cmp_u_f32_e64 s[46:47], v95, v95                         // 00000000AD0C: D048002E 0002BF5F
	v_add3_u32 v16, v95, v19, 1                                // 00000000AD14: D1FF0010 0206275F
	v_cndmask_b32_e64 v5, v16, v18, s[46:47]                   // 00000000AD1C: D1000005 00BA2510
	v_perm_b32 v73, v5, v4, s52                                // 00000000AD24: D1ED0049 00D20905
	v_cmp_u_f32_e64 s[46:47], v96, v96                         // 00000000AD2C: D048002E 0002C160
	v_add3_u32 v16, v96, v19, 1                                // 00000000AD34: D1FF0010 02062760
	v_cndmask_b32_e64 v4, v16, v18, s[46:47]                   // 00000000AD3C: D1000004 00BA2510
	v_cmp_u_f32_e64 s[46:47], v97, v97                         // 00000000AD44: D048002E 0002C361
	v_add3_u32 v16, v97, v19, 1                                // 00000000AD4C: D1FF0010 02062761
	v_cndmask_b32_e64 v5, v16, v18, s[46:47]                   // 00000000AD54: D1000005 00BA2510
	v_perm_b32 v74, v5, v4, s52                                // 00000000AD5C: D1ED004A 00D20905
	v_cmp_u_f32_e64 s[46:47], v98, v98                         // 00000000AD64: D048002E 0002C562
	v_add3_u32 v16, v98, v19, 1                                // 00000000AD6C: D1FF0010 02062762
	v_cndmask_b32_e64 v4, v16, v18, s[46:47]                   // 00000000AD74: D1000004 00BA2510
	v_cmp_u_f32_e64 s[46:47], v99, v99                         // 00000000AD7C: D048002E 0002C763
	v_add3_u32 v16, v99, v19, 1                                // 00000000AD84: D1FF0010 02062763
	v_cndmask_b32_e64 v5, v16, v18, s[46:47]                   // 00000000AD8C: D1000005 00BA2510
	v_perm_b32 v75, v5, v4, s52                                // 00000000AD94: D1ED004B 00D20905
	ds_write_b64 v20, v[52:53]                                 // 00000000AD9C: D89A0000 00003414
	ds_write_b64 v20, v[54:55] offset:8704                     // 00000000ADA4: D89A2200 00003614
	ds_write_b64 v20, v[56:57] offset:17408                    // 00000000ADAC: D89A4400 00003814
	ds_write_b64 v20, v[58:59] offset:2176                     // 00000000ADB4: D89A0880 00003A14
	ds_write_b64 v20, v[60:61] offset:10880                    // 00000000ADBC: D89A2A80 00003C14
	ds_write_b64 v20, v[62:63] offset:19584                    // 00000000ADC4: D89A4C80 00003E14
	ds_write_b64 v20, v[64:65] offset:4352                     // 00000000ADCC: D89A1100 00004014
	ds_write_b64 v20, v[66:67] offset:13056                    // 00000000ADD4: D89A3300 00004214
	ds_write_b64 v20, v[68:69] offset:21760                    // 00000000ADDC: D89A5500 00004414
	ds_write_b64 v20, v[70:71] offset:6528                     // 00000000ADE4: D89A1980 00004614
	ds_write_b64 v20, v[72:73] offset:15232                    // 00000000ADEC: D89A3B80 00004814
	ds_write_b64 v20, v[74:75] offset:23936                    // 00000000ADF4: D89A5D80 00004A14
	v_lshrrev_b32_e32 v4, 5, v0                                // 00000000ADFC: 20080085
	v_xor_b32_e32 v5, 1, v4                                    // 00000000AE00: 2A0A0881
	s_mul_i32 s60, s65, 2                                      // 00000000AE04: 923C8241
	s_cmp_eq_u32 s88, 0                                        // 00000000AE08: BF068058
	s_cselect_b32 s61, 1, 4                                    // 00000000AE0C: 853D8481
	s_mul_i32 s60, s61, s60                                    // 00000000AE10: 923C3C3D
	v_readlane_b32 s82, v3, 0                                  // 00000000AE14: D2890052 00010103
	s_lshr_b32 s61, s82, 24                                    // 00000000AE1C: 8F3D9852
	s_and_b32 s82, s82, 0xffffff                               // 00000000AE20: 8652FF52 00FFFFFF
	s_mul_i32 s82, s82, s71                                    // 00000000AE28: 92524752
	s_mul_i32 s61, s60, s61                                    // 00000000AE2C: 923D3D3C
	s_add_u32 s82, s82, s61                                    // 00000000AE30: 80523D52
	v_mul_lo_u32 v6, v5, s82                                   // 00000000AE34: D2850006 0000A505
	v_readlane_b32 s82, v3, 1                                  // 00000000AE3C: D2890052 00010303
	s_lshr_b32 s61, s82, 24                                    // 00000000AE44: 8F3D9852
	s_and_b32 s82, s82, 0xffffff                               // 00000000AE48: 8652FF52 00FFFFFF
	s_mul_i32 s82, s82, s71                                    // 00000000AE50: 92524752
	s_mul_i32 s61, s60, s61                                    // 00000000AE54: 923D3D3C
	s_add_u32 s82, s82, s61                                    // 00000000AE58: 80523D52
	v_mul_lo_u32 v7, v4, s82                                   // 00000000AE5C: D2850007 0000A504
	v_add_u32_e32 v42, v6, v7                                  // 00000000AE64: 68540F06
	v_readlane_b32 s82, v3, 2                                  // 00000000AE68: D2890052 00010503
	s_lshr_b32 s61, s82, 24                                    // 00000000AE70: 8F3D9852
	s_and_b32 s82, s82, 0xffffff                               // 00000000AE74: 8652FF52 00FFFFFF
	s_mul_i32 s82, s82, s71                                    // 00000000AE7C: 92524752
	s_mul_i32 s61, s60, s61                                    // 00000000AE80: 923D3D3C
	s_add_u32 s82, s82, s61                                    // 00000000AE84: 80523D52
	v_mul_lo_u32 v6, v5, s82                                   // 00000000AE88: D2850006 0000A505
	v_readlane_b32 s82, v3, 3                                  // 00000000AE90: D2890052 00010703
	s_lshr_b32 s61, s82, 24                                    // 00000000AE98: 8F3D9852
	s_and_b32 s82, s82, 0xffffff                               // 00000000AE9C: 8652FF52 00FFFFFF
	s_mul_i32 s82, s82, s71                                    // 00000000AEA4: 92524752
	s_mul_i32 s61, s60, s61                                    // 00000000AEA8: 923D3D3C
	s_add_u32 s82, s82, s61                                    // 00000000AEAC: 80523D52
	v_mul_lo_u32 v7, v4, s82                                   // 00000000AEB0: D2850007 0000A504
	v_add_u32_e32 v43, v6, v7                                  // 00000000AEB8: 68560F06
	v_readlane_b32 s82, v3, 4                                  // 00000000AEBC: D2890052 00010903
	s_lshr_b32 s61, s82, 24                                    // 00000000AEC4: 8F3D9852
	s_and_b32 s82, s82, 0xffffff                               // 00000000AEC8: 8652FF52 00FFFFFF
	s_mul_i32 s82, s82, s71                                    // 00000000AED0: 92524752
	s_mul_i32 s61, s60, s61                                    // 00000000AED4: 923D3D3C
	s_add_u32 s82, s82, s61                                    // 00000000AED8: 80523D52
	v_mul_lo_u32 v6, v5, s82                                   // 00000000AEDC: D2850006 0000A505
	v_readlane_b32 s82, v3, 5                                  // 00000000AEE4: D2890052 00010B03
	s_lshr_b32 s61, s82, 24                                    // 00000000AEEC: 8F3D9852
	s_and_b32 s82, s82, 0xffffff                               // 00000000AEF0: 8652FF52 00FFFFFF
	s_mul_i32 s82, s82, s71                                    // 00000000AEF8: 92524752
	s_mul_i32 s61, s60, s61                                    // 00000000AEFC: 923D3D3C
	s_add_u32 s82, s82, s61                                    // 00000000AF00: 80523D52
	v_mul_lo_u32 v7, v4, s82                                   // 00000000AF04: D2850007 0000A504
	v_add_u32_e32 v44, v6, v7                                  // 00000000AF0C: 68580F06
	v_readlane_b32 s82, v3, 6                                  // 00000000AF10: D2890052 00010D03
	s_lshr_b32 s61, s82, 24                                    // 00000000AF18: 8F3D9852
	s_and_b32 s82, s82, 0xffffff                               // 00000000AF1C: 8652FF52 00FFFFFF
	s_mul_i32 s82, s82, s71                                    // 00000000AF24: 92524752
	s_mul_i32 s61, s60, s61                                    // 00000000AF28: 923D3D3C
	s_add_u32 s82, s82, s61                                    // 00000000AF2C: 80523D52
	v_mul_lo_u32 v6, v5, s82                                   // 00000000AF30: D2850006 0000A505
	v_readlane_b32 s82, v3, 7                                  // 00000000AF38: D2890052 00010F03
	s_lshr_b32 s61, s82, 24                                    // 00000000AF40: 8F3D9852
	s_and_b32 s82, s82, 0xffffff                               // 00000000AF44: 8652FF52 00FFFFFF
	s_mul_i32 s82, s82, s71                                    // 00000000AF4C: 92524752
	s_mul_i32 s61, s60, s61                                    // 00000000AF50: 923D3D3C
	s_add_u32 s82, s82, s61                                    // 00000000AF54: 80523D52
	v_mul_lo_u32 v7, v4, s82                                   // 00000000AF58: D2850007 0000A504
	v_add_u32_e32 v45, v6, v7                                  // 00000000AF60: 685A0F06
	v_readlane_b32 s82, v3, 8                                  // 00000000AF64: D2890052 00011103
	s_lshr_b32 s61, s82, 24                                    // 00000000AF6C: 8F3D9852
	s_and_b32 s82, s82, 0xffffff                               // 00000000AF70: 8652FF52 00FFFFFF
	s_mul_i32 s82, s82, s71                                    // 00000000AF78: 92524752
	s_mul_i32 s61, s60, s61                                    // 00000000AF7C: 923D3D3C
	s_add_u32 s82, s82, s61                                    // 00000000AF80: 80523D52
	v_mul_lo_u32 v6, v5, s82                                   // 00000000AF84: D2850006 0000A505
	v_readlane_b32 s82, v3, 9                                  // 00000000AF8C: D2890052 00011303
	s_lshr_b32 s61, s82, 24                                    // 00000000AF94: 8F3D9852
	s_and_b32 s82, s82, 0xffffff                               // 00000000AF98: 8652FF52 00FFFFFF
	s_mul_i32 s82, s82, s71                                    // 00000000AFA0: 92524752
	s_mul_i32 s61, s60, s61                                    // 00000000AFA4: 923D3D3C
	s_add_u32 s82, s82, s61                                    // 00000000AFA8: 80523D52
	v_mul_lo_u32 v7, v4, s82                                   // 00000000AFAC: D2850007 0000A504
	v_add_u32_e32 v46, v6, v7                                  // 00000000AFB4: 685C0F06
	v_readlane_b32 s82, v3, 10                                 // 00000000AFB8: D2890052 00011503
	s_lshr_b32 s61, s82, 24                                    // 00000000AFC0: 8F3D9852
	s_and_b32 s82, s82, 0xffffff                               // 00000000AFC4: 8652FF52 00FFFFFF
	s_mul_i32 s82, s82, s71                                    // 00000000AFCC: 92524752
	s_mul_i32 s61, s60, s61                                    // 00000000AFD0: 923D3D3C
	s_add_u32 s82, s82, s61                                    // 00000000AFD4: 80523D52
	v_mul_lo_u32 v6, v5, s82                                   // 00000000AFD8: D2850006 0000A505
	v_readlane_b32 s82, v3, 11                                 // 00000000AFE0: D2890052 00011703
	s_lshr_b32 s61, s82, 24                                    // 00000000AFE8: 8F3D9852
	s_and_b32 s82, s82, 0xffffff                               // 00000000AFEC: 8652FF52 00FFFFFF
	s_mul_i32 s82, s82, s71                                    // 00000000AFF4: 92524752
	s_mul_i32 s61, s60, s61                                    // 00000000AFF8: 923D3D3C
	s_add_u32 s82, s82, s61                                    // 00000000AFFC: 80523D52
	v_mul_lo_u32 v7, v4, s82                                   // 00000000B000: D2850007 0000A504
	v_add_u32_e32 v47, v6, v7                                  // 00000000B008: 685E0F06
	v_and_b32_e32 v4, 31, v0                                   // 00000000B00C: 2608009F
	v_lshrrev_b32_e32 v4, 1, v4                                // 00000000B010: 20080881
	s_cmp_eq_u32 s88, 0                                        // 00000000B014: BF068058
	s_cselect_b32 s61, 2, 4                                    // 00000000B018: 853D8482
	v_mul_lo_u32 v4, v4, s61                                   // 00000000B01C: D2850004 00007B04
	v_and_b32_e64 v5, v0, 1                                    // 00000000B024: D1130005 00010300
	v_add_u32_e32 v4, v4, v5                                   // 00000000B02C: 68080B04
	v_lshlrev_b32_e32 v4, 2, v4                                // 00000000B030: 24080882
	v_add_u32_e32 v42, v42, v4                                 // 00000000B034: 6854092A
	v_add_u32_e32 v43, v43, v4                                 // 00000000B038: 6856092B
	v_add_u32_e32 v44, v44, v4                                 // 00000000B03C: 6858092C
	v_add_u32_e32 v45, v45, v4                                 // 00000000B040: 685A092D
	v_add_u32_e32 v46, v46, v4                                 // 00000000B044: 685C092E
	v_add_u32_e32 v47, v47, v4                                 // 00000000B048: 685E092F
	s_waitcnt lgkmcnt(0)                                       // 00000000B04C: BF8CC07F
	s_barrier                                                  // 00000000B050: BF8A0000
	ds_read_b32 v52, v21                                       // 00000000B054: D86C0000 34000015
	ds_read_b32 v53, v21 offset:64                             // 00000000B05C: D86C0040 35000015
	ds_read_b32 v54, v21 offset:2176                           // 00000000B064: D86C0880 36000015
	ds_read_b32 v55, v21 offset:2240                           // 00000000B06C: D86C08C0 37000015
	ds_read_b32 v56, v21 offset:4352                           // 00000000B074: D86C1100 38000015
	ds_read_b32 v57, v21 offset:4416                           // 00000000B07C: D86C1140 39000015
	ds_read_b32 v58, v21 offset:6528                           // 00000000B084: D86C1980 3A000015
	ds_read_b32 v59, v21 offset:6592                           // 00000000B08C: D86C19C0 3B000015
	ds_read_b32 v60, v21 offset:8704                           // 00000000B094: D86C2200 3C000015
	ds_read_b32 v61, v21 offset:8768                           // 00000000B09C: D86C2240 3D000015
	ds_read_b32 v62, v21 offset:10880                          // 00000000B0A4: D86C2A80 3E000015
	ds_read_b32 v63, v21 offset:10944                          // 00000000B0AC: D86C2AC0 3F000015
	ds_read_b32 v64, v21 offset:13056                          // 00000000B0B4: D86C3300 40000015
	ds_read_b32 v65, v21 offset:13120                          // 00000000B0BC: D86C3340 41000015
	ds_read_b32 v66, v21 offset:15232                          // 00000000B0C4: D86C3B80 42000015
	ds_read_b32 v67, v21 offset:15296                          // 00000000B0CC: D86C3BC0 43000015
	ds_read_b32 v68, v21 offset:17408                          // 00000000B0D4: D86C4400 44000015
	ds_read_b32 v69, v21 offset:17472                          // 00000000B0DC: D86C4440 45000015
	ds_read_b32 v70, v21 offset:19584                          // 00000000B0E4: D86C4C80 46000015
	ds_read_b32 v71, v21 offset:19648                          // 00000000B0EC: D86C4CC0 47000015
	ds_read_b32 v72, v21 offset:21760                          // 00000000B0F4: D86C5500 48000015
	ds_read_b32 v73, v21 offset:21824                          // 00000000B0FC: D86C5540 49000015
	ds_read_b32 v74, v21 offset:23936                          // 00000000B104: D86C5D80 4A000015
	ds_read_b32 v75, v21 offset:24000                          // 00000000B10C: D86C5DC0 4B000015
	s_waitcnt lgkmcnt(0)                                       // 00000000B114: BF8CC07F
	s_mov_b32 s36, -1                                          // 00000000B118: BEA400C1
	s_mov_b32 s37, -1                                          // 00000000B11C: BEA500C1
	v_mov_b32_e32 v7, 0                                        // 00000000B120: 7E0E0280
	s_or_b32 s9, s9, 0x40000                                   // 00000000B124: 8709FF09 00040000
	s_mov_b64 exec, s[36:37]                                   // 00000000B12C: BEFE0124
	v_mov_b32_e32 v6, v42                                      // 00000000B130: 7E0C032A
	s_mov_b64 s[60:61], 0                                      // 00000000B134: BEBC0180
	v_readlane_b32 s82, v3, 0                                  // 00000000B138: D2890052 00010103
	s_and_b32 s82, s82, 0xffffff                               // 00000000B140: 8652FF52 00FFFFFF
	s_cmp_lt_u32 s82, s66                                      // 00000000B148: BF0A4252
	s_cselect_b32 s20, s36, s60                                // 00000000B14C: 85143C24
	v_readlane_b32 s82, v3, 1                                  // 00000000B150: D2890052 00010303
	s_and_b32 s82, s82, 0xffffff                               // 00000000B158: 8652FF52 00FFFFFF
	s_cmp_lt_u32 s82, s66                                      // 00000000B160: BF0A4252
	s_cselect_b32 s21, s36, s60                                // 00000000B164: 85153C24
	s_mov_b64 exec, s[20:21]                                   // 00000000B168: BEFE0114
	buffer_store_dword v52, v6, s[8:11], 0 offen               // 00000000B16C: E0701000 80023406
	buffer_store_dword v54, v6, s[8:11], 0 offen offset:128    // 00000000B174: E0701080 80023606
	buffer_store_dword v56, v6, s[8:11], 0 offen offset:256    // 00000000B17C: E0701100 80023806
	buffer_store_dword v58, v6, s[8:11], 0 offen offset:384    // 00000000B184: E0701180 80023A06
	s_mov_b64 exec, s[36:37]                                   // 00000000B18C: BEFE0124
	v_mov_b32_e32 v6, v43                                      // 00000000B190: 7E0C032B
	s_mov_b64 s[60:61], 0                                      // 00000000B194: BEBC0180
	v_readlane_b32 s82, v3, 2                                  // 00000000B198: D2890052 00010503
	s_and_b32 s82, s82, 0xffffff                               // 00000000B1A0: 8652FF52 00FFFFFF
	s_cmp_lt_u32 s82, s66                                      // 00000000B1A8: BF0A4252
	s_cselect_b32 s20, s36, s60                                // 00000000B1AC: 85143C24
	v_readlane_b32 s82, v3, 3                                  // 00000000B1B0: D2890052 00010703
	s_and_b32 s82, s82, 0xffffff                               // 00000000B1B8: 8652FF52 00FFFFFF
	s_cmp_lt_u32 s82, s66                                      // 00000000B1C0: BF0A4252
	s_cselect_b32 s21, s36, s60                                // 00000000B1C4: 85153C24
	s_mov_b64 exec, s[20:21]                                   // 00000000B1C8: BEFE0114
	buffer_store_dword v53, v6, s[8:11], 0 offen               // 00000000B1CC: E0701000 80023506
	buffer_store_dword v55, v6, s[8:11], 0 offen offset:128    // 00000000B1D4: E0701080 80023706
	buffer_store_dword v57, v6, s[8:11], 0 offen offset:256    // 00000000B1DC: E0701100 80023906
	buffer_store_dword v59, v6, s[8:11], 0 offen offset:384    // 00000000B1E4: E0701180 80023B06
	s_mov_b64 exec, s[36:37]                                   // 00000000B1EC: BEFE0124
	v_mov_b32_e32 v6, v44                                      // 00000000B1F0: 7E0C032C
	s_mov_b64 s[60:61], 0                                      // 00000000B1F4: BEBC0180
	v_readlane_b32 s82, v3, 4                                  // 00000000B1F8: D2890052 00010903
	s_and_b32 s82, s82, 0xffffff                               // 00000000B200: 8652FF52 00FFFFFF
	s_cmp_lt_u32 s82, s66                                      // 00000000B208: BF0A4252
	s_cselect_b32 s20, s36, s60                                // 00000000B20C: 85143C24
	v_readlane_b32 s82, v3, 5                                  // 00000000B210: D2890052 00010B03
	s_and_b32 s82, s82, 0xffffff                               // 00000000B218: 8652FF52 00FFFFFF
	s_cmp_lt_u32 s82, s66                                      // 00000000B220: BF0A4252
	s_cselect_b32 s21, s36, s60                                // 00000000B224: 85153C24
	s_mov_b64 exec, s[20:21]                                   // 00000000B228: BEFE0114
	buffer_store_dword v60, v6, s[8:11], 0 offen               // 00000000B22C: E0701000 80023C06
	buffer_store_dword v62, v6, s[8:11], 0 offen offset:128    // 00000000B234: E0701080 80023E06
	buffer_store_dword v64, v6, s[8:11], 0 offen offset:256    // 00000000B23C: E0701100 80024006
	buffer_store_dword v66, v6, s[8:11], 0 offen offset:384    // 00000000B244: E0701180 80024206
	s_mov_b64 exec, s[36:37]                                   // 00000000B24C: BEFE0124
	v_mov_b32_e32 v6, v45                                      // 00000000B250: 7E0C032D
	s_mov_b64 s[60:61], 0                                      // 00000000B254: BEBC0180
	v_readlane_b32 s82, v3, 6                                  // 00000000B258: D2890052 00010D03
	s_and_b32 s82, s82, 0xffffff                               // 00000000B260: 8652FF52 00FFFFFF
	s_cmp_lt_u32 s82, s66                                      // 00000000B268: BF0A4252
	s_cselect_b32 s20, s36, s60                                // 00000000B26C: 85143C24
	v_readlane_b32 s82, v3, 7                                  // 00000000B270: D2890052 00010F03
	s_and_b32 s82, s82, 0xffffff                               // 00000000B278: 8652FF52 00FFFFFF
	s_cmp_lt_u32 s82, s66                                      // 00000000B280: BF0A4252
	s_cselect_b32 s21, s36, s60                                // 00000000B284: 85153C24
	s_mov_b64 exec, s[20:21]                                   // 00000000B288: BEFE0114
	buffer_store_dword v61, v6, s[8:11], 0 offen               // 00000000B28C: E0701000 80023D06
	buffer_store_dword v63, v6, s[8:11], 0 offen offset:128    // 00000000B294: E0701080 80023F06
	buffer_store_dword v65, v6, s[8:11], 0 offen offset:256    // 00000000B29C: E0701100 80024106
	buffer_store_dword v67, v6, s[8:11], 0 offen offset:384    // 00000000B2A4: E0701180 80024306
	s_mov_b64 exec, s[36:37]                                   // 00000000B2AC: BEFE0124
	v_mov_b32_e32 v6, v46                                      // 00000000B2B0: 7E0C032E
	s_mov_b64 s[60:61], 0                                      // 00000000B2B4: BEBC0180
	v_readlane_b32 s82, v3, 8                                  // 00000000B2B8: D2890052 00011103
	s_and_b32 s82, s82, 0xffffff                               // 00000000B2C0: 8652FF52 00FFFFFF
	s_cmp_lt_u32 s82, s66                                      // 00000000B2C8: BF0A4252
	s_cselect_b32 s20, s36, s60                                // 00000000B2CC: 85143C24
	v_readlane_b32 s82, v3, 9                                  // 00000000B2D0: D2890052 00011303
	s_and_b32 s82, s82, 0xffffff                               // 00000000B2D8: 8652FF52 00FFFFFF
	s_cmp_lt_u32 s82, s66                                      // 00000000B2E0: BF0A4252
	s_cselect_b32 s21, s36, s60                                // 00000000B2E4: 85153C24
	s_mov_b64 exec, s[20:21]                                   // 00000000B2E8: BEFE0114
	buffer_store_dword v68, v6, s[8:11], 0 offen               // 00000000B2EC: E0701000 80024406
	buffer_store_dword v70, v6, s[8:11], 0 offen offset:128    // 00000000B2F4: E0701080 80024606
	buffer_store_dword v72, v6, s[8:11], 0 offen offset:256    // 00000000B2FC: E0701100 80024806
	buffer_store_dword v74, v6, s[8:11], 0 offen offset:384    // 00000000B304: E0701180 80024A06
	s_mov_b64 exec, s[36:37]                                   // 00000000B30C: BEFE0124
	v_mov_b32_e32 v6, v47                                      // 00000000B310: 7E0C032F
	s_mov_b64 s[60:61], 0                                      // 00000000B314: BEBC0180
	v_readlane_b32 s82, v3, 10                                 // 00000000B318: D2890052 00011503
	s_and_b32 s82, s82, 0xffffff                               // 00000000B320: 8652FF52 00FFFFFF
	s_cmp_lt_u32 s82, s66                                      // 00000000B328: BF0A4252
	s_cselect_b32 s20, s36, s60                                // 00000000B32C: 85143C24
	v_readlane_b32 s82, v3, 11                                 // 00000000B330: D2890052 00011703
	s_and_b32 s82, s82, 0xffffff                               // 00000000B338: 8652FF52 00FFFFFF
	s_cmp_lt_u32 s82, s66                                      // 00000000B340: BF0A4252
	s_cselect_b32 s21, s36, s60                                // 00000000B344: 85153C24
	s_mov_b64 exec, s[20:21]                                   // 00000000B348: BEFE0114
	buffer_store_dword v69, v6, s[8:11], 0 offen               // 00000000B34C: E0701000 80024506
	buffer_store_dword v71, v6, s[8:11], 0 offen offset:128    // 00000000B354: E0701080 80024706
	buffer_store_dword v73, v6, s[8:11], 0 offen offset:256    // 00000000B35C: E0701100 80024906
	buffer_store_dword v75, v6, s[8:11], 0 offen offset:384    // 00000000B364: E0701180 80024B06
	s_mov_b64 exec, s[36:37]                                   // 00000000B36C: BEFE0124
	s_branch label_266E                                        // 00000000B370: BF82040E

000000000000b374 <label_2260>:
	ds_write_b64 v20, v[52:53]                                 // 00000000B374: D89A0000 00003414
	ds_write_b64 v20, v[56:57] offset:8704                     // 00000000B37C: D89A2200 00003814
	ds_write_b64 v20, v[60:61] offset:17408                    // 00000000B384: D89A4400 00003C14
	ds_write_b64 v20, v[64:65] offset:2176                     // 00000000B38C: D89A0880 00004014
	ds_write_b64 v20, v[68:69] offset:10880                    // 00000000B394: D89A2A80 00004414
	ds_write_b64 v20, v[72:73] offset:19584                    // 00000000B39C: D89A4C80 00004814
	ds_write_b64 v20, v[76:77] offset:4352                     // 00000000B3A4: D89A1100 00004C14
	ds_write_b64 v20, v[80:81] offset:13056                    // 00000000B3AC: D89A3300 00005014
	ds_write_b64 v20, v[84:85] offset:21760                    // 00000000B3B4: D89A5500 00005414
	ds_write_b64 v20, v[88:89] offset:6528                     // 00000000B3BC: D89A1980 00005814
	ds_write_b64 v20, v[92:93] offset:15232                    // 00000000B3C4: D89A3B80 00005C14
	ds_write_b64 v20, v[96:97] offset:23936                    // 00000000B3CC: D89A5D80 00006014
	v_lshrrev_b32_e32 v4, 5, v0                                // 00000000B3D4: 20080085
	v_xor_b32_e32 v5, 1, v4                                    // 00000000B3D8: 2A0A0881
	s_mul_i32 s60, s65, 2                                      // 00000000B3DC: 923C8241
	s_cmp_eq_u32 s88, 0                                        // 00000000B3E0: BF068058
	s_cselect_b32 s61, 1, 4                                    // 00000000B3E4: 853D8481
	s_mul_i32 s60, s61, s60                                    // 00000000B3E8: 923C3C3D
	v_readlane_b32 s82, v3, 0                                  // 00000000B3EC: D2890052 00010103
	s_lshr_b32 s61, s82, 24                                    // 00000000B3F4: 8F3D9852
	s_and_b32 s82, s82, 0xffffff                               // 00000000B3F8: 8652FF52 00FFFFFF
	s_mul_i32 s82, s82, s71                                    // 00000000B400: 92524752
	s_mul_i32 s61, s60, s61                                    // 00000000B404: 923D3D3C
	s_add_u32 s82, s82, s61                                    // 00000000B408: 80523D52
	v_mul_lo_u32 v6, v5, s82                                   // 00000000B40C: D2850006 0000A505
	v_readlane_b32 s82, v3, 1                                  // 00000000B414: D2890052 00010303
	s_lshr_b32 s61, s82, 24                                    // 00000000B41C: 8F3D9852
	s_and_b32 s82, s82, 0xffffff                               // 00000000B420: 8652FF52 00FFFFFF
	s_mul_i32 s82, s82, s71                                    // 00000000B428: 92524752
	s_mul_i32 s61, s60, s61                                    // 00000000B42C: 923D3D3C
	s_add_u32 s82, s82, s61                                    // 00000000B430: 80523D52
	v_mul_lo_u32 v7, v4, s82                                   // 00000000B434: D2850007 0000A504
	v_add_u32_e32 v42, v6, v7                                  // 00000000B43C: 68540F06
	v_readlane_b32 s82, v3, 2                                  // 00000000B440: D2890052 00010503
	s_lshr_b32 s61, s82, 24                                    // 00000000B448: 8F3D9852
	s_and_b32 s82, s82, 0xffffff                               // 00000000B44C: 8652FF52 00FFFFFF
	s_mul_i32 s82, s82, s71                                    // 00000000B454: 92524752
	s_mul_i32 s61, s60, s61                                    // 00000000B458: 923D3D3C
	s_add_u32 s82, s82, s61                                    // 00000000B45C: 80523D52
	v_mul_lo_u32 v6, v5, s82                                   // 00000000B460: D2850006 0000A505
	v_readlane_b32 s82, v3, 3                                  // 00000000B468: D2890052 00010703
	s_lshr_b32 s61, s82, 24                                    // 00000000B470: 8F3D9852
	s_and_b32 s82, s82, 0xffffff                               // 00000000B474: 8652FF52 00FFFFFF
	s_mul_i32 s82, s82, s71                                    // 00000000B47C: 92524752
	s_mul_i32 s61, s60, s61                                    // 00000000B480: 923D3D3C
	s_add_u32 s82, s82, s61                                    // 00000000B484: 80523D52
	v_mul_lo_u32 v7, v4, s82                                   // 00000000B488: D2850007 0000A504
	v_add_u32_e32 v43, v6, v7                                  // 00000000B490: 68560F06
	v_readlane_b32 s82, v3, 4                                  // 00000000B494: D2890052 00010903
	s_lshr_b32 s61, s82, 24                                    // 00000000B49C: 8F3D9852
	s_and_b32 s82, s82, 0xffffff                               // 00000000B4A0: 8652FF52 00FFFFFF
	s_mul_i32 s82, s82, s71                                    // 00000000B4A8: 92524752
	s_mul_i32 s61, s60, s61                                    // 00000000B4AC: 923D3D3C
	s_add_u32 s82, s82, s61                                    // 00000000B4B0: 80523D52
	v_mul_lo_u32 v6, v5, s82                                   // 00000000B4B4: D2850006 0000A505
	v_readlane_b32 s82, v3, 5                                  // 00000000B4BC: D2890052 00010B03
	s_lshr_b32 s61, s82, 24                                    // 00000000B4C4: 8F3D9852
	s_and_b32 s82, s82, 0xffffff                               // 00000000B4C8: 8652FF52 00FFFFFF
	s_mul_i32 s82, s82, s71                                    // 00000000B4D0: 92524752
	s_mul_i32 s61, s60, s61                                    // 00000000B4D4: 923D3D3C
	s_add_u32 s82, s82, s61                                    // 00000000B4D8: 80523D52
	v_mul_lo_u32 v7, v4, s82                                   // 00000000B4DC: D2850007 0000A504
	v_add_u32_e32 v44, v6, v7                                  // 00000000B4E4: 68580F06
	v_readlane_b32 s82, v3, 6                                  // 00000000B4E8: D2890052 00010D03
	s_lshr_b32 s61, s82, 24                                    // 00000000B4F0: 8F3D9852
	s_and_b32 s82, s82, 0xffffff                               // 00000000B4F4: 8652FF52 00FFFFFF
	s_mul_i32 s82, s82, s71                                    // 00000000B4FC: 92524752
	s_mul_i32 s61, s60, s61                                    // 00000000B500: 923D3D3C
	s_add_u32 s82, s82, s61                                    // 00000000B504: 80523D52
	v_mul_lo_u32 v6, v5, s82                                   // 00000000B508: D2850006 0000A505
	v_readlane_b32 s82, v3, 7                                  // 00000000B510: D2890052 00010F03
	s_lshr_b32 s61, s82, 24                                    // 00000000B518: 8F3D9852
	s_and_b32 s82, s82, 0xffffff                               // 00000000B51C: 8652FF52 00FFFFFF
	s_mul_i32 s82, s82, s71                                    // 00000000B524: 92524752
	s_mul_i32 s61, s60, s61                                    // 00000000B528: 923D3D3C
	s_add_u32 s82, s82, s61                                    // 00000000B52C: 80523D52
	v_mul_lo_u32 v7, v4, s82                                   // 00000000B530: D2850007 0000A504
	v_add_u32_e32 v45, v6, v7                                  // 00000000B538: 685A0F06
	v_readlane_b32 s82, v3, 8                                  // 00000000B53C: D2890052 00011103
	s_lshr_b32 s61, s82, 24                                    // 00000000B544: 8F3D9852
	s_and_b32 s82, s82, 0xffffff                               // 00000000B548: 8652FF52 00FFFFFF
	s_mul_i32 s82, s82, s71                                    // 00000000B550: 92524752
	s_mul_i32 s61, s60, s61                                    // 00000000B554: 923D3D3C
	s_add_u32 s82, s82, s61                                    // 00000000B558: 80523D52
	v_mul_lo_u32 v6, v5, s82                                   // 00000000B55C: D2850006 0000A505
	v_readlane_b32 s82, v3, 9                                  // 00000000B564: D2890052 00011303
	s_lshr_b32 s61, s82, 24                                    // 00000000B56C: 8F3D9852
	s_and_b32 s82, s82, 0xffffff                               // 00000000B570: 8652FF52 00FFFFFF
	s_mul_i32 s82, s82, s71                                    // 00000000B578: 92524752
	s_mul_i32 s61, s60, s61                                    // 00000000B57C: 923D3D3C
	s_add_u32 s82, s82, s61                                    // 00000000B580: 80523D52
	v_mul_lo_u32 v7, v4, s82                                   // 00000000B584: D2850007 0000A504
	v_add_u32_e32 v46, v6, v7                                  // 00000000B58C: 685C0F06
	v_readlane_b32 s82, v3, 10                                 // 00000000B590: D2890052 00011503
	s_lshr_b32 s61, s82, 24                                    // 00000000B598: 8F3D9852
	s_and_b32 s82, s82, 0xffffff                               // 00000000B59C: 8652FF52 00FFFFFF
	s_mul_i32 s82, s82, s71                                    // 00000000B5A4: 92524752
	s_mul_i32 s61, s60, s61                                    // 00000000B5A8: 923D3D3C
	s_add_u32 s82, s82, s61                                    // 00000000B5AC: 80523D52
	v_mul_lo_u32 v6, v5, s82                                   // 00000000B5B0: D2850006 0000A505
	v_readlane_b32 s82, v3, 11                                 // 00000000B5B8: D2890052 00011703
	s_lshr_b32 s61, s82, 24                                    // 00000000B5C0: 8F3D9852
	s_and_b32 s82, s82, 0xffffff                               // 00000000B5C4: 8652FF52 00FFFFFF
	s_mul_i32 s82, s82, s71                                    // 00000000B5CC: 92524752
	s_mul_i32 s61, s60, s61                                    // 00000000B5D0: 923D3D3C
	s_add_u32 s82, s82, s61                                    // 00000000B5D4: 80523D52
	v_mul_lo_u32 v7, v4, s82                                   // 00000000B5D8: D2850007 0000A504
	v_add_u32_e32 v47, v6, v7                                  // 00000000B5E0: 685E0F06
	v_and_b32_e32 v4, 31, v0                                   // 00000000B5E4: 2608009F
	v_lshrrev_b32_e32 v4, 1, v4                                // 00000000B5E8: 20080881
	s_cmp_eq_u32 s88, 0                                        // 00000000B5EC: BF068058
	s_cselect_b32 s61, 2, 4                                    // 00000000B5F0: 853D8482
	v_mul_lo_u32 v4, v4, s61                                   // 00000000B5F4: D2850004 00007B04
	v_and_b32_e64 v5, v0, 1                                    // 00000000B5FC: D1130005 00010300
	v_add_u32_e32 v4, v4, v5                                   // 00000000B604: 68080B04
	v_lshlrev_b32_e32 v4, 2, v4                                // 00000000B608: 24080882
	v_add_u32_e32 v42, v42, v4                                 // 00000000B60C: 6854092A
	v_add_u32_e32 v43, v43, v4                                 // 00000000B610: 6856092B
	v_add_u32_e32 v44, v44, v4                                 // 00000000B614: 6858092C
	v_add_u32_e32 v45, v45, v4                                 // 00000000B618: 685A092D
	v_add_u32_e32 v46, v46, v4                                 // 00000000B61C: 685C092E
	v_add_u32_e32 v47, v47, v4                                 // 00000000B620: 685E092F
	s_waitcnt lgkmcnt(0)                                       // 00000000B624: BF8CC07F
	s_barrier                                                  // 00000000B628: BF8A0000
	ds_read_b32 v52, v21                                       // 00000000B62C: D86C0000 34000015
	ds_read_b32 v53, v21 offset:64                             // 00000000B634: D86C0040 35000015
	ds_read_b32 v56, v21 offset:2176                           // 00000000B63C: D86C0880 38000015
	ds_read_b32 v57, v21 offset:2240                           // 00000000B644: D86C08C0 39000015
	ds_read_b32 v60, v21 offset:4352                           // 00000000B64C: D86C1100 3C000015
	ds_read_b32 v61, v21 offset:4416                           // 00000000B654: D86C1140 3D000015
	ds_read_b32 v64, v21 offset:6528                           // 00000000B65C: D86C1980 40000015
	ds_read_b32 v65, v21 offset:6592                           // 00000000B664: D86C19C0 41000015
	ds_read_b32 v68, v21 offset:8704                           // 00000000B66C: D86C2200 44000015
	ds_read_b32 v69, v21 offset:8768                           // 00000000B674: D86C2240 45000015
	ds_read_b32 v72, v21 offset:10880                          // 00000000B67C: D86C2A80 48000015
	ds_read_b32 v73, v21 offset:10944                          // 00000000B684: D86C2AC0 49000015
	ds_read_b32 v76, v21 offset:13056                          // 00000000B68C: D86C3300 4C000015
	ds_read_b32 v77, v21 offset:13120                          // 00000000B694: D86C3340 4D000015
	ds_read_b32 v80, v21 offset:15232                          // 00000000B69C: D86C3B80 50000015
	ds_read_b32 v81, v21 offset:15296                          // 00000000B6A4: D86C3BC0 51000015
	ds_read_b32 v84, v21 offset:17408                          // 00000000B6AC: D86C4400 54000015
	ds_read_b32 v85, v21 offset:17472                          // 00000000B6B4: D86C4440 55000015
	ds_read_b32 v88, v21 offset:19584                          // 00000000B6BC: D86C4C80 58000015
	ds_read_b32 v89, v21 offset:19648                          // 00000000B6C4: D86C4CC0 59000015
	ds_read_b32 v92, v21 offset:21760                          // 00000000B6CC: D86C5500 5C000015
	ds_read_b32 v93, v21 offset:21824                          // 00000000B6D4: D86C5540 5D000015
	ds_read_b32 v96, v21 offset:23936                          // 00000000B6DC: D86C5D80 60000015
	ds_read_b32 v97, v21 offset:24000                          // 00000000B6E4: D86C5DC0 61000015
	s_waitcnt lgkmcnt(0)                                       // 00000000B6EC: BF8CC07F
	s_mov_b32 s36, -1                                          // 00000000B6F0: BEA400C1
	s_mov_b32 s37, -1                                          // 00000000B6F4: BEA500C1
	v_mov_b32_e32 v7, 0                                        // 00000000B6F8: 7E0E0280
	s_mov_b64 exec, s[36:37]                                   // 00000000B6FC: BEFE0124
	v_mov_b32_e32 v6, v42                                      // 00000000B700: 7E0C032A
	s_mov_b64 s[60:61], 0                                      // 00000000B704: BEBC0180
	v_readlane_b32 s82, v3, 0                                  // 00000000B708: D2890052 00010103
	s_and_b32 s82, s82, 0xffffff                               // 00000000B710: 8652FF52 00FFFFFF
	s_cmp_lt_u32 s82, s66                                      // 00000000B718: BF0A4252
	s_cselect_b32 s20, s36, s60                                // 00000000B71C: 85143C24
	v_readlane_b32 s82, v3, 1                                  // 00000000B720: D2890052 00010303
	s_and_b32 s82, s82, 0xffffff                               // 00000000B728: 8652FF52 00FFFFFF
	s_cmp_lt_u32 s82, s66                                      // 00000000B730: BF0A4252
	s_cselect_b32 s21, s36, s60                                // 00000000B734: 85153C24
	s_mov_b64 exec, s[20:21]                                   // 00000000B738: BEFE0114
	global_atomic_add_f32 v6, v52, s[8:9]                      // 00000000B73C: DD348000 00083406
	global_atomic_add_f32 v6, v56, s[8:9] offset:256           // 00000000B744: DD348100 00083806
	global_atomic_add_f32 v6, v60, s[8:9] offset:512           // 00000000B74C: DD348200 00083C06
	global_atomic_add_f32 v6, v64, s[8:9] offset:768           // 00000000B754: DD348300 00084006
	s_mov_b64 exec, s[36:37]                                   // 00000000B75C: BEFE0124
	v_mov_b32_e32 v6, v43                                      // 00000000B760: 7E0C032B
	s_mov_b64 s[60:61], 0                                      // 00000000B764: BEBC0180
	v_readlane_b32 s82, v3, 2                                  // 00000000B768: D2890052 00010503
	s_and_b32 s82, s82, 0xffffff                               // 00000000B770: 8652FF52 00FFFFFF
	s_cmp_lt_u32 s82, s66                                      // 00000000B778: BF0A4252
	s_cselect_b32 s20, s36, s60                                // 00000000B77C: 85143C24
	v_readlane_b32 s82, v3, 3                                  // 00000000B780: D2890052 00010703
	s_and_b32 s82, s82, 0xffffff                               // 00000000B788: 8652FF52 00FFFFFF
	s_cmp_lt_u32 s82, s66                                      // 00000000B790: BF0A4252
	s_cselect_b32 s21, s36, s60                                // 00000000B794: 85153C24
	s_mov_b64 exec, s[20:21]                                   // 00000000B798: BEFE0114
	global_atomic_add_f32 v6, v53, s[8:9]                      // 00000000B79C: DD348000 00083506
	global_atomic_add_f32 v6, v57, s[8:9] offset:256           // 00000000B7A4: DD348100 00083906
	global_atomic_add_f32 v6, v61, s[8:9] offset:512           // 00000000B7AC: DD348200 00083D06
	global_atomic_add_f32 v6, v65, s[8:9] offset:768           // 00000000B7B4: DD348300 00084106
	s_mov_b64 exec, s[36:37]                                   // 00000000B7BC: BEFE0124
	v_mov_b32_e32 v6, v44                                      // 00000000B7C0: 7E0C032C
	s_mov_b64 s[60:61], 0                                      // 00000000B7C4: BEBC0180
	v_readlane_b32 s82, v3, 4                                  // 00000000B7C8: D2890052 00010903
	s_and_b32 s82, s82, 0xffffff                               // 00000000B7D0: 8652FF52 00FFFFFF
	s_cmp_lt_u32 s82, s66                                      // 00000000B7D8: BF0A4252
	s_cselect_b32 s20, s36, s60                                // 00000000B7DC: 85143C24
	v_readlane_b32 s82, v3, 5                                  // 00000000B7E0: D2890052 00010B03
	s_and_b32 s82, s82, 0xffffff                               // 00000000B7E8: 8652FF52 00FFFFFF
	s_cmp_lt_u32 s82, s66                                      // 00000000B7F0: BF0A4252
	s_cselect_b32 s21, s36, s60                                // 00000000B7F4: 85153C24
	s_mov_b64 exec, s[20:21]                                   // 00000000B7F8: BEFE0114
	global_atomic_add_f32 v6, v68, s[8:9]                      // 00000000B7FC: DD348000 00084406
	global_atomic_add_f32 v6, v72, s[8:9] offset:256           // 00000000B804: DD348100 00084806
	global_atomic_add_f32 v6, v76, s[8:9] offset:512           // 00000000B80C: DD348200 00084C06
	global_atomic_add_f32 v6, v80, s[8:9] offset:768           // 00000000B814: DD348300 00085006
	s_mov_b64 exec, s[36:37]                                   // 00000000B81C: BEFE0124
	v_mov_b32_e32 v6, v45                                      // 00000000B820: 7E0C032D
	s_mov_b64 s[60:61], 0                                      // 00000000B824: BEBC0180
	v_readlane_b32 s82, v3, 6                                  // 00000000B828: D2890052 00010D03
	s_and_b32 s82, s82, 0xffffff                               // 00000000B830: 8652FF52 00FFFFFF
	s_cmp_lt_u32 s82, s66                                      // 00000000B838: BF0A4252
	s_cselect_b32 s20, s36, s60                                // 00000000B83C: 85143C24
	v_readlane_b32 s82, v3, 7                                  // 00000000B840: D2890052 00010F03
	s_and_b32 s82, s82, 0xffffff                               // 00000000B848: 8652FF52 00FFFFFF
	s_cmp_lt_u32 s82, s66                                      // 00000000B850: BF0A4252
	s_cselect_b32 s21, s36, s60                                // 00000000B854: 85153C24
	s_mov_b64 exec, s[20:21]                                   // 00000000B858: BEFE0114
	global_atomic_add_f32 v6, v69, s[8:9]                      // 00000000B85C: DD348000 00084506
	global_atomic_add_f32 v6, v73, s[8:9] offset:256           // 00000000B864: DD348100 00084906
	global_atomic_add_f32 v6, v77, s[8:9] offset:512           // 00000000B86C: DD348200 00084D06
	global_atomic_add_f32 v6, v81, s[8:9] offset:768           // 00000000B874: DD348300 00085106
	s_mov_b64 exec, s[36:37]                                   // 00000000B87C: BEFE0124
	v_mov_b32_e32 v6, v46                                      // 00000000B880: 7E0C032E
	s_mov_b64 s[60:61], 0                                      // 00000000B884: BEBC0180
	v_readlane_b32 s82, v3, 8                                  // 00000000B888: D2890052 00011103
	s_and_b32 s82, s82, 0xffffff                               // 00000000B890: 8652FF52 00FFFFFF
	s_cmp_lt_u32 s82, s66                                      // 00000000B898: BF0A4252
	s_cselect_b32 s20, s36, s60                                // 00000000B89C: 85143C24
	v_readlane_b32 s82, v3, 9                                  // 00000000B8A0: D2890052 00011303
	s_and_b32 s82, s82, 0xffffff                               // 00000000B8A8: 8652FF52 00FFFFFF
	s_cmp_lt_u32 s82, s66                                      // 00000000B8B0: BF0A4252
	s_cselect_b32 s21, s36, s60                                // 00000000B8B4: 85153C24
	s_mov_b64 exec, s[20:21]                                   // 00000000B8B8: BEFE0114
	global_atomic_add_f32 v6, v84, s[8:9]                      // 00000000B8BC: DD348000 00085406
	global_atomic_add_f32 v6, v88, s[8:9] offset:256           // 00000000B8C4: DD348100 00085806
	global_atomic_add_f32 v6, v92, s[8:9] offset:512           // 00000000B8CC: DD348200 00085C06
	global_atomic_add_f32 v6, v96, s[8:9] offset:768           // 00000000B8D4: DD348300 00086006
	s_mov_b64 exec, s[36:37]                                   // 00000000B8DC: BEFE0124
	v_mov_b32_e32 v6, v47                                      // 00000000B8E0: 7E0C032F
	s_mov_b64 s[60:61], 0                                      // 00000000B8E4: BEBC0180
	v_readlane_b32 s82, v3, 10                                 // 00000000B8E8: D2890052 00011503
	s_and_b32 s82, s82, 0xffffff                               // 00000000B8F0: 8652FF52 00FFFFFF
	s_cmp_lt_u32 s82, s66                                      // 00000000B8F8: BF0A4252
	s_cselect_b32 s20, s36, s60                                // 00000000B8FC: 85143C24
	v_readlane_b32 s82, v3, 11                                 // 00000000B900: D2890052 00011703
	s_and_b32 s82, s82, 0xffffff                               // 00000000B908: 8652FF52 00FFFFFF
	s_cmp_lt_u32 s82, s66                                      // 00000000B910: BF0A4252
	s_cselect_b32 s21, s36, s60                                // 00000000B914: 85153C24
	s_mov_b64 exec, s[20:21]                                   // 00000000B918: BEFE0114
	global_atomic_add_f32 v6, v85, s[8:9]                      // 00000000B91C: DD348000 00085506
	global_atomic_add_f32 v6, v89, s[8:9] offset:256           // 00000000B924: DD348100 00085906
	global_atomic_add_f32 v6, v93, s[8:9] offset:512           // 00000000B92C: DD348200 00085D06
	global_atomic_add_f32 v6, v97, s[8:9] offset:768           // 00000000B934: DD348300 00086106
	s_mov_b64 exec, s[36:37]                                   // 00000000B93C: BEFE0124
	ds_write_b64 v20, v[54:55]                                 // 00000000B940: D89A0000 00003614
	ds_write_b64 v20, v[58:59] offset:8704                     // 00000000B948: D89A2200 00003A14
	ds_write_b64 v20, v[62:63] offset:17408                    // 00000000B950: D89A4400 00003E14
	ds_write_b64 v20, v[66:67] offset:2176                     // 00000000B958: D89A0880 00004214
	ds_write_b64 v20, v[70:71] offset:10880                    // 00000000B960: D89A2A80 00004614
	ds_write_b64 v20, v[74:75] offset:19584                    // 00000000B968: D89A4C80 00004A14
	ds_write_b64 v20, v[78:79] offset:4352                     // 00000000B970: D89A1100 00004E14
	ds_write_b64 v20, v[82:83] offset:13056                    // 00000000B978: D89A3300 00005214
	ds_write_b64 v20, v[86:87] offset:21760                    // 00000000B980: D89A5500 00005614
	ds_write_b64 v20, v[90:91] offset:6528                     // 00000000B988: D89A1980 00005A14
	ds_write_b64 v20, v[94:95] offset:15232                    // 00000000B990: D89A3B80 00005E14
	ds_write_b64 v20, v[98:99] offset:23936                    // 00000000B998: D89A5D80 00006214
	s_waitcnt lgkmcnt(0)                                       // 00000000B9A0: BF8CC07F
	s_barrier                                                  // 00000000B9A4: BF8A0000
	ds_read_b32 v54, v21                                       // 00000000B9A8: D86C0000 36000015
	ds_read_b32 v55, v21 offset:64                             // 00000000B9B0: D86C0040 37000015
	ds_read_b32 v58, v21 offset:2176                           // 00000000B9B8: D86C0880 3A000015
	ds_read_b32 v59, v21 offset:2240                           // 00000000B9C0: D86C08C0 3B000015
	ds_read_b32 v62, v21 offset:4352                           // 00000000B9C8: D86C1100 3E000015
	ds_read_b32 v63, v21 offset:4416                           // 00000000B9D0: D86C1140 3F000015
	ds_read_b32 v66, v21 offset:6528                           // 00000000B9D8: D86C1980 42000015
	ds_read_b32 v67, v21 offset:6592                           // 00000000B9E0: D86C19C0 43000015
	ds_read_b32 v70, v21 offset:8704                           // 00000000B9E8: D86C2200 46000015
	ds_read_b32 v71, v21 offset:8768                           // 00000000B9F0: D86C2240 47000015
	ds_read_b32 v74, v21 offset:10880                          // 00000000B9F8: D86C2A80 4A000015
	ds_read_b32 v75, v21 offset:10944                          // 00000000BA00: D86C2AC0 4B000015
	ds_read_b32 v78, v21 offset:13056                          // 00000000BA08: D86C3300 4E000015
	ds_read_b32 v79, v21 offset:13120                          // 00000000BA10: D86C3340 4F000015
	ds_read_b32 v82, v21 offset:15232                          // 00000000BA18: D86C3B80 52000015
	ds_read_b32 v83, v21 offset:15296                          // 00000000BA20: D86C3BC0 53000015
	ds_read_b32 v86, v21 offset:17408                          // 00000000BA28: D86C4400 56000015
	ds_read_b32 v87, v21 offset:17472                          // 00000000BA30: D86C4440 57000015
	ds_read_b32 v90, v21 offset:19584                          // 00000000BA38: D86C4C80 5A000015
	ds_read_b32 v91, v21 offset:19648                          // 00000000BA40: D86C4CC0 5B000015
	ds_read_b32 v94, v21 offset:21760                          // 00000000BA48: D86C5500 5E000015
	ds_read_b32 v95, v21 offset:21824                          // 00000000BA50: D86C5540 5F000015
	ds_read_b32 v98, v21 offset:23936                          // 00000000BA58: D86C5D80 62000015
	ds_read_b32 v99, v21 offset:24000                          // 00000000BA60: D86C5DC0 63000015
	s_waitcnt lgkmcnt(0)                                       // 00000000BA68: BF8CC07F
	v_mov_b32_e32 v7, 0                                        // 00000000BA6C: 7E0E0280
	s_mov_b64 exec, s[36:37]                                   // 00000000BA70: BEFE0124
	v_mov_b32_e32 v6, v42                                      // 00000000BA74: 7E0C032A
	s_mov_b64 s[60:61], 0                                      // 00000000BA78: BEBC0180
	v_readlane_b32 s82, v3, 0                                  // 00000000BA7C: D2890052 00010103
	s_and_b32 s82, s82, 0xffffff                               // 00000000BA84: 8652FF52 00FFFFFF
	s_cmp_lt_u32 s82, s66                                      // 00000000BA8C: BF0A4252
	s_cselect_b32 s20, s36, s60                                // 00000000BA90: 85143C24
	v_readlane_b32 s82, v3, 1                                  // 00000000BA94: D2890052 00010303
	s_and_b32 s82, s82, 0xffffff                               // 00000000BA9C: 8652FF52 00FFFFFF
	s_cmp_lt_u32 s82, s66                                      // 00000000BAA4: BF0A4252
	s_cselect_b32 s21, s36, s60                                // 00000000BAA8: 85153C24
	s_mov_b64 exec, s[20:21]                                   // 00000000BAAC: BEFE0114
	global_atomic_add_f32 v6, v54, s[8:9] offset:8             // 00000000BAB0: DD348008 00083606
	global_atomic_add_f32 v6, v58, s[8:9] offset:264           // 00000000BAB8: DD348108 00083A06
	global_atomic_add_f32 v6, v62, s[8:9] offset:520           // 00000000BAC0: DD348208 00083E06
	global_atomic_add_f32 v6, v66, s[8:9] offset:776           // 00000000BAC8: DD348308 00084206
	s_mov_b64 exec, s[36:37]                                   // 00000000BAD0: BEFE0124
	v_mov_b32_e32 v6, v43                                      // 00000000BAD4: 7E0C032B
	s_mov_b64 s[60:61], 0                                      // 00000000BAD8: BEBC0180
	v_readlane_b32 s82, v3, 2                                  // 00000000BADC: D2890052 00010503
	s_and_b32 s82, s82, 0xffffff                               // 00000000BAE4: 8652FF52 00FFFFFF
	s_cmp_lt_u32 s82, s66                                      // 00000000BAEC: BF0A4252
	s_cselect_b32 s20, s36, s60                                // 00000000BAF0: 85143C24
	v_readlane_b32 s82, v3, 3                                  // 00000000BAF4: D2890052 00010703
	s_and_b32 s82, s82, 0xffffff                               // 00000000BAFC: 8652FF52 00FFFFFF
	s_cmp_lt_u32 s82, s66                                      // 00000000BB04: BF0A4252
	s_cselect_b32 s21, s36, s60                                // 00000000BB08: 85153C24
	s_mov_b64 exec, s[20:21]                                   // 00000000BB0C: BEFE0114
	global_atomic_add_f32 v6, v55, s[8:9] offset:8             // 00000000BB10: DD348008 00083706
	global_atomic_add_f32 v6, v59, s[8:9] offset:264           // 00000000BB18: DD348108 00083B06
	global_atomic_add_f32 v6, v63, s[8:9] offset:520           // 00000000BB20: DD348208 00083F06
	global_atomic_add_f32 v6, v67, s[8:9] offset:776           // 00000000BB28: DD348308 00084306
	s_mov_b64 exec, s[36:37]                                   // 00000000BB30: BEFE0124
	v_mov_b32_e32 v6, v44                                      // 00000000BB34: 7E0C032C
	s_mov_b64 s[60:61], 0                                      // 00000000BB38: BEBC0180
	v_readlane_b32 s82, v3, 4                                  // 00000000BB3C: D2890052 00010903
	s_and_b32 s82, s82, 0xffffff                               // 00000000BB44: 8652FF52 00FFFFFF
	s_cmp_lt_u32 s82, s66                                      // 00000000BB4C: BF0A4252
	s_cselect_b32 s20, s36, s60                                // 00000000BB50: 85143C24
	v_readlane_b32 s82, v3, 5                                  // 00000000BB54: D2890052 00010B03
	s_and_b32 s82, s82, 0xffffff                               // 00000000BB5C: 8652FF52 00FFFFFF
	s_cmp_lt_u32 s82, s66                                      // 00000000BB64: BF0A4252
	s_cselect_b32 s21, s36, s60                                // 00000000BB68: 85153C24
	s_mov_b64 exec, s[20:21]                                   // 00000000BB6C: BEFE0114
	global_atomic_add_f32 v6, v70, s[8:9] offset:8             // 00000000BB70: DD348008 00084606
	global_atomic_add_f32 v6, v74, s[8:9] offset:264           // 00000000BB78: DD348108 00084A06
	global_atomic_add_f32 v6, v78, s[8:9] offset:520           // 00000000BB80: DD348208 00084E06
	global_atomic_add_f32 v6, v82, s[8:9] offset:776           // 00000000BB88: DD348308 00085206
	s_mov_b64 exec, s[36:37]                                   // 00000000BB90: BEFE0124
	v_mov_b32_e32 v6, v45                                      // 00000000BB94: 7E0C032D
	s_mov_b64 s[60:61], 0                                      // 00000000BB98: BEBC0180
	v_readlane_b32 s82, v3, 6                                  // 00000000BB9C: D2890052 00010D03
	s_and_b32 s82, s82, 0xffffff                               // 00000000BBA4: 8652FF52 00FFFFFF
	s_cmp_lt_u32 s82, s66                                      // 00000000BBAC: BF0A4252
	s_cselect_b32 s20, s36, s60                                // 00000000BBB0: 85143C24
	v_readlane_b32 s82, v3, 7                                  // 00000000BBB4: D2890052 00010F03
	s_and_b32 s82, s82, 0xffffff                               // 00000000BBBC: 8652FF52 00FFFFFF
	s_cmp_lt_u32 s82, s66                                      // 00000000BBC4: BF0A4252
	s_cselect_b32 s21, s36, s60                                // 00000000BBC8: 85153C24
	s_mov_b64 exec, s[20:21]                                   // 00000000BBCC: BEFE0114
	global_atomic_add_f32 v6, v71, s[8:9] offset:8             // 00000000BBD0: DD348008 00084706
	global_atomic_add_f32 v6, v75, s[8:9] offset:264           // 00000000BBD8: DD348108 00084B06
	global_atomic_add_f32 v6, v79, s[8:9] offset:520           // 00000000BBE0: DD348208 00084F06
	global_atomic_add_f32 v6, v83, s[8:9] offset:776           // 00000000BBE8: DD348308 00085306
	s_mov_b64 exec, s[36:37]                                   // 00000000BBF0: BEFE0124
	v_mov_b32_e32 v6, v46                                      // 00000000BBF4: 7E0C032E
	s_mov_b64 s[60:61], 0                                      // 00000000BBF8: BEBC0180
	v_readlane_b32 s82, v3, 8                                  // 00000000BBFC: D2890052 00011103
	s_and_b32 s82, s82, 0xffffff                               // 00000000BC04: 8652FF52 00FFFFFF
	s_cmp_lt_u32 s82, s66                                      // 00000000BC0C: BF0A4252
	s_cselect_b32 s20, s36, s60                                // 00000000BC10: 85143C24
	v_readlane_b32 s82, v3, 9                                  // 00000000BC14: D2890052 00011303
	s_and_b32 s82, s82, 0xffffff                               // 00000000BC1C: 8652FF52 00FFFFFF
	s_cmp_lt_u32 s82, s66                                      // 00000000BC24: BF0A4252
	s_cselect_b32 s21, s36, s60                                // 00000000BC28: 85153C24
	s_mov_b64 exec, s[20:21]                                   // 00000000BC2C: BEFE0114
	global_atomic_add_f32 v6, v86, s[8:9] offset:8             // 00000000BC30: DD348008 00085606
	global_atomic_add_f32 v6, v90, s[8:9] offset:264           // 00000000BC38: DD348108 00085A06
	global_atomic_add_f32 v6, v94, s[8:9] offset:520           // 00000000BC40: DD348208 00085E06
	global_atomic_add_f32 v6, v98, s[8:9] offset:776           // 00000000BC48: DD348308 00086206
	s_mov_b64 exec, s[36:37]                                   // 00000000BC50: BEFE0124
	v_mov_b32_e32 v6, v47                                      // 00000000BC54: 7E0C032F
	s_mov_b64 s[60:61], 0                                      // 00000000BC58: BEBC0180
	v_readlane_b32 s82, v3, 10                                 // 00000000BC5C: D2890052 00011503
	s_and_b32 s82, s82, 0xffffff                               // 00000000BC64: 8652FF52 00FFFFFF
	s_cmp_lt_u32 s82, s66                                      // 00000000BC6C: BF0A4252
	s_cselect_b32 s20, s36, s60                                // 00000000BC70: 85143C24
	v_readlane_b32 s82, v3, 11                                 // 00000000BC74: D2890052 00011703
	s_and_b32 s82, s82, 0xffffff                               // 00000000BC7C: 8652FF52 00FFFFFF
	s_cmp_lt_u32 s82, s66                                      // 00000000BC84: BF0A4252
	s_cselect_b32 s21, s36, s60                                // 00000000BC88: 85153C24
	s_mov_b64 exec, s[20:21]                                   // 00000000BC8C: BEFE0114
	global_atomic_add_f32 v6, v87, s[8:9] offset:8             // 00000000BC90: DD348008 00085706
	global_atomic_add_f32 v6, v91, s[8:9] offset:264           // 00000000BC98: DD348108 00085B06
	global_atomic_add_f32 v6, v95, s[8:9] offset:520           // 00000000BCA0: DD348208 00085F06
	global_atomic_add_f32 v6, v99, s[8:9] offset:776           // 00000000BCA8: DD348308 00086306
	s_mov_b64 exec, s[36:37]                                   // 00000000BCB0: BEFE0124
	ds_write_b64 v20, v[100:101]                               // 00000000BCB4: D89A0000 00006414
	ds_write_b64 v20, v[104:105] offset:8704                   // 00000000BCBC: D89A2200 00006814
	ds_write_b64 v20, v[108:109] offset:17408                  // 00000000BCC4: D89A4400 00006C14
	ds_write_b64 v20, v[112:113] offset:2176                   // 00000000BCCC: D89A0880 00007014
	ds_write_b64 v20, v[116:117] offset:10880                  // 00000000BCD4: D89A2A80 00007414
	ds_write_b64 v20, v[120:121] offset:19584                  // 00000000BCDC: D89A4C80 00007814
	ds_write_b64 v20, v[124:125] offset:4352                   // 00000000BCE4: D89A1100 00007C14
	ds_write_b64 v20, v[128:129] offset:13056                  // 00000000BCEC: D89A3300 00008014
	ds_write_b64 v20, v[132:133] offset:21760                  // 00000000BCF4: D89A5500 00008414
	ds_write_b64 v20, v[136:137] offset:6528                   // 00000000BCFC: D89A1980 00008814
	ds_write_b64 v20, v[140:141] offset:15232                  // 00000000BD04: D89A3B80 00008C14
	ds_write_b64 v20, v[144:145] offset:23936                  // 00000000BD0C: D89A5D80 00009014
	s_waitcnt lgkmcnt(0)                                       // 00000000BD14: BF8CC07F
	s_barrier                                                  // 00000000BD18: BF8A0000
	ds_read_b32 v100, v21                                      // 00000000BD1C: D86C0000 64000015
	ds_read_b32 v101, v21 offset:64                            // 00000000BD24: D86C0040 65000015
	ds_read_b32 v104, v21 offset:2176                          // 00000000BD2C: D86C0880 68000015
	ds_read_b32 v105, v21 offset:2240                          // 00000000BD34: D86C08C0 69000015
	ds_read_b32 v108, v21 offset:4352                          // 00000000BD3C: D86C1100 6C000015
	ds_read_b32 v109, v21 offset:4416                          // 00000000BD44: D86C1140 6D000015
	ds_read_b32 v112, v21 offset:6528                          // 00000000BD4C: D86C1980 70000015
	ds_read_b32 v113, v21 offset:6592                          // 00000000BD54: D86C19C0 71000015
	ds_read_b32 v116, v21 offset:8704                          // 00000000BD5C: D86C2200 74000015
	ds_read_b32 v117, v21 offset:8768                          // 00000000BD64: D86C2240 75000015
	ds_read_b32 v120, v21 offset:10880                         // 00000000BD6C: D86C2A80 78000015
	ds_read_b32 v121, v21 offset:10944                         // 00000000BD74: D86C2AC0 79000015
	ds_read_b32 v124, v21 offset:13056                         // 00000000BD7C: D86C3300 7C000015
	ds_read_b32 v125, v21 offset:13120                         // 00000000BD84: D86C3340 7D000015
	ds_read_b32 v128, v21 offset:15232                         // 00000000BD8C: D86C3B80 80000015
	ds_read_b32 v129, v21 offset:15296                         // 00000000BD94: D86C3BC0 81000015
	ds_read_b32 v132, v21 offset:17408                         // 00000000BD9C: D86C4400 84000015
	ds_read_b32 v133, v21 offset:17472                         // 00000000BDA4: D86C4440 85000015
	ds_read_b32 v136, v21 offset:19584                         // 00000000BDAC: D86C4C80 88000015
	ds_read_b32 v137, v21 offset:19648                         // 00000000BDB4: D86C4CC0 89000015
	ds_read_b32 v140, v21 offset:21760                         // 00000000BDBC: D86C5500 8C000015
	ds_read_b32 v141, v21 offset:21824                         // 00000000BDC4: D86C5540 8D000015
	ds_read_b32 v144, v21 offset:23936                         // 00000000BDCC: D86C5D80 90000015
	ds_read_b32 v145, v21 offset:24000                         // 00000000BDD4: D86C5DC0 91000015
	s_mul_i32 s60, s65, 4                                      // 00000000BDDC: 923C8441
	s_add_u32 s8, s60, s8                                      // 00000000BDE0: 8008083C
	s_addc_u32 s9, 0, s9                                       // 00000000BDE4: 82090980
	s_waitcnt lgkmcnt(0)                                       // 00000000BDE8: BF8CC07F
	v_mov_b32_e32 v7, 0                                        // 00000000BDEC: 7E0E0280
	s_mov_b64 exec, s[36:37]                                   // 00000000BDF0: BEFE0124
	v_mov_b32_e32 v6, v42                                      // 00000000BDF4: 7E0C032A
	s_mov_b64 s[60:61], 0                                      // 00000000BDF8: BEBC0180
	v_readlane_b32 s82, v3, 0                                  // 00000000BDFC: D2890052 00010103
	s_and_b32 s82, s82, 0xffffff                               // 00000000BE04: 8652FF52 00FFFFFF
	s_cmp_lt_u32 s82, s66                                      // 00000000BE0C: BF0A4252
	s_cselect_b32 s20, s36, s60                                // 00000000BE10: 85143C24
	v_readlane_b32 s82, v3, 1                                  // 00000000BE14: D2890052 00010303
	s_and_b32 s82, s82, 0xffffff                               // 00000000BE1C: 8652FF52 00FFFFFF
	s_cmp_lt_u32 s82, s66                                      // 00000000BE24: BF0A4252
	s_cselect_b32 s21, s36, s60                                // 00000000BE28: 85153C24
	s_mov_b64 exec, s[20:21]                                   // 00000000BE2C: BEFE0114
	global_atomic_add_f32 v6, v100, s[8:9]                     // 00000000BE30: DD348000 00086406
	global_atomic_add_f32 v6, v104, s[8:9] offset:256          // 00000000BE38: DD348100 00086806
	global_atomic_add_f32 v6, v108, s[8:9] offset:512          // 00000000BE40: DD348200 00086C06
	global_atomic_add_f32 v6, v112, s[8:9] offset:768          // 00000000BE48: DD348300 00087006
	s_mov_b64 exec, s[36:37]                                   // 00000000BE50: BEFE0124
	v_mov_b32_e32 v6, v43                                      // 00000000BE54: 7E0C032B
	s_mov_b64 s[60:61], 0                                      // 00000000BE58: BEBC0180
	v_readlane_b32 s82, v3, 2                                  // 00000000BE5C: D2890052 00010503
	s_and_b32 s82, s82, 0xffffff                               // 00000000BE64: 8652FF52 00FFFFFF
	s_cmp_lt_u32 s82, s66                                      // 00000000BE6C: BF0A4252
	s_cselect_b32 s20, s36, s60                                // 00000000BE70: 85143C24
	v_readlane_b32 s82, v3, 3                                  // 00000000BE74: D2890052 00010703
	s_and_b32 s82, s82, 0xffffff                               // 00000000BE7C: 8652FF52 00FFFFFF
	s_cmp_lt_u32 s82, s66                                      // 00000000BE84: BF0A4252
	s_cselect_b32 s21, s36, s60                                // 00000000BE88: 85153C24
	s_mov_b64 exec, s[20:21]                                   // 00000000BE8C: BEFE0114
	global_atomic_add_f32 v6, v101, s[8:9]                     // 00000000BE90: DD348000 00086506
	global_atomic_add_f32 v6, v105, s[8:9] offset:256          // 00000000BE98: DD348100 00086906
	global_atomic_add_f32 v6, v109, s[8:9] offset:512          // 00000000BEA0: DD348200 00086D06
	global_atomic_add_f32 v6, v113, s[8:9] offset:768          // 00000000BEA8: DD348300 00087106
	s_mov_b64 exec, s[36:37]                                   // 00000000BEB0: BEFE0124
	v_mov_b32_e32 v6, v44                                      // 00000000BEB4: 7E0C032C
	s_mov_b64 s[60:61], 0                                      // 00000000BEB8: BEBC0180
	v_readlane_b32 s82, v3, 4                                  // 00000000BEBC: D2890052 00010903
	s_and_b32 s82, s82, 0xffffff                               // 00000000BEC4: 8652FF52 00FFFFFF
	s_cmp_lt_u32 s82, s66                                      // 00000000BECC: BF0A4252
	s_cselect_b32 s20, s36, s60                                // 00000000BED0: 85143C24
	v_readlane_b32 s82, v3, 5                                  // 00000000BED4: D2890052 00010B03
	s_and_b32 s82, s82, 0xffffff                               // 00000000BEDC: 8652FF52 00FFFFFF
	s_cmp_lt_u32 s82, s66                                      // 00000000BEE4: BF0A4252
	s_cselect_b32 s21, s36, s60                                // 00000000BEE8: 85153C24
	s_mov_b64 exec, s[20:21]                                   // 00000000BEEC: BEFE0114
	global_atomic_add_f32 v6, v116, s[8:9]                     // 00000000BEF0: DD348000 00087406
	global_atomic_add_f32 v6, v120, s[8:9] offset:256          // 00000000BEF8: DD348100 00087806
	global_atomic_add_f32 v6, v124, s[8:9] offset:512          // 00000000BF00: DD348200 00087C06
	global_atomic_add_f32 v6, v128, s[8:9] offset:768          // 00000000BF08: DD348300 00088006
	s_mov_b64 exec, s[36:37]                                   // 00000000BF10: BEFE0124
	v_mov_b32_e32 v6, v45                                      // 00000000BF14: 7E0C032D
	s_mov_b64 s[60:61], 0                                      // 00000000BF18: BEBC0180
	v_readlane_b32 s82, v3, 6                                  // 00000000BF1C: D2890052 00010D03
	s_and_b32 s82, s82, 0xffffff                               // 00000000BF24: 8652FF52 00FFFFFF
	s_cmp_lt_u32 s82, s66                                      // 00000000BF2C: BF0A4252
	s_cselect_b32 s20, s36, s60                                // 00000000BF30: 85143C24
	v_readlane_b32 s82, v3, 7                                  // 00000000BF34: D2890052 00010F03
	s_and_b32 s82, s82, 0xffffff                               // 00000000BF3C: 8652FF52 00FFFFFF
	s_cmp_lt_u32 s82, s66                                      // 00000000BF44: BF0A4252
	s_cselect_b32 s21, s36, s60                                // 00000000BF48: 85153C24
	s_mov_b64 exec, s[20:21]                                   // 00000000BF4C: BEFE0114
	global_atomic_add_f32 v6, v117, s[8:9]                     // 00000000BF50: DD348000 00087506
	global_atomic_add_f32 v6, v121, s[8:9] offset:256          // 00000000BF58: DD348100 00087906
	global_atomic_add_f32 v6, v125, s[8:9] offset:512          // 00000000BF60: DD348200 00087D06
	global_atomic_add_f32 v6, v129, s[8:9] offset:768          // 00000000BF68: DD348300 00088106
	s_mov_b64 exec, s[36:37]                                   // 00000000BF70: BEFE0124
	v_mov_b32_e32 v6, v46                                      // 00000000BF74: 7E0C032E
	s_mov_b64 s[60:61], 0                                      // 00000000BF78: BEBC0180
	v_readlane_b32 s82, v3, 8                                  // 00000000BF7C: D2890052 00011103
	s_and_b32 s82, s82, 0xffffff                               // 00000000BF84: 8652FF52 00FFFFFF
	s_cmp_lt_u32 s82, s66                                      // 00000000BF8C: BF0A4252
	s_cselect_b32 s20, s36, s60                                // 00000000BF90: 85143C24
	v_readlane_b32 s82, v3, 9                                  // 00000000BF94: D2890052 00011303
	s_and_b32 s82, s82, 0xffffff                               // 00000000BF9C: 8652FF52 00FFFFFF
	s_cmp_lt_u32 s82, s66                                      // 00000000BFA4: BF0A4252
	s_cselect_b32 s21, s36, s60                                // 00000000BFA8: 85153C24
	s_mov_b64 exec, s[20:21]                                   // 00000000BFAC: BEFE0114
	global_atomic_add_f32 v6, v132, s[8:9]                     // 00000000BFB0: DD348000 00088406
	global_atomic_add_f32 v6, v136, s[8:9] offset:256          // 00000000BFB8: DD348100 00088806
	global_atomic_add_f32 v6, v140, s[8:9] offset:512          // 00000000BFC0: DD348200 00088C06
	global_atomic_add_f32 v6, v144, s[8:9] offset:768          // 00000000BFC8: DD348300 00089006
	s_mov_b64 exec, s[36:37]                                   // 00000000BFD0: BEFE0124
	v_mov_b32_e32 v6, v47                                      // 00000000BFD4: 7E0C032F
	s_mov_b64 s[60:61], 0                                      // 00000000BFD8: BEBC0180
	v_readlane_b32 s82, v3, 10                                 // 00000000BFDC: D2890052 00011503
	s_and_b32 s82, s82, 0xffffff                               // 00000000BFE4: 8652FF52 00FFFFFF
	s_cmp_lt_u32 s82, s66                                      // 00000000BFEC: BF0A4252
	s_cselect_b32 s20, s36, s60                                // 00000000BFF0: 85143C24
	v_readlane_b32 s82, v3, 11                                 // 00000000BFF4: D2890052 00011703
	s_and_b32 s82, s82, 0xffffff                               // 00000000BFFC: 8652FF52 00FFFFFF
	s_cmp_lt_u32 s82, s66                                      // 00000000C004: BF0A4252
	s_cselect_b32 s21, s36, s60                                // 00000000C008: 85153C24
	s_mov_b64 exec, s[20:21]                                   // 00000000C00C: BEFE0114
	global_atomic_add_f32 v6, v133, s[8:9]                     // 00000000C010: DD348000 00088506
	global_atomic_add_f32 v6, v137, s[8:9] offset:256          // 00000000C018: DD348100 00088906
	global_atomic_add_f32 v6, v141, s[8:9] offset:512          // 00000000C020: DD348200 00088D06
	global_atomic_add_f32 v6, v145, s[8:9] offset:768          // 00000000C028: DD348300 00089106
	s_mov_b64 exec, s[36:37]                                   // 00000000C030: BEFE0124
	ds_write_b64 v20, v[102:103]                               // 00000000C034: D89A0000 00006614
	ds_write_b64 v20, v[106:107] offset:8704                   // 00000000C03C: D89A2200 00006A14
	ds_write_b64 v20, v[110:111] offset:17408                  // 00000000C044: D89A4400 00006E14
	ds_write_b64 v20, v[114:115] offset:2176                   // 00000000C04C: D89A0880 00007214
	ds_write_b64 v20, v[118:119] offset:10880                  // 00000000C054: D89A2A80 00007614
	ds_write_b64 v20, v[122:123] offset:19584                  // 00000000C05C: D89A4C80 00007A14
	ds_write_b64 v20, v[126:127] offset:4352                   // 00000000C064: D89A1100 00007E14
	ds_write_b64 v20, v[130:131] offset:13056                  // 00000000C06C: D89A3300 00008214
	ds_write_b64 v20, v[134:135] offset:21760                  // 00000000C074: D89A5500 00008614
	ds_write_b64 v20, v[138:139] offset:6528                   // 00000000C07C: D89A1980 00008A14
	ds_write_b64 v20, v[142:143] offset:15232                  // 00000000C084: D89A3B80 00008E14
	ds_write_b64 v20, v[146:147] offset:23936                  // 00000000C08C: D89A5D80 00009214
	s_waitcnt lgkmcnt(0)                                       // 00000000C094: BF8CC07F
	s_barrier                                                  // 00000000C098: BF8A0000
	ds_read_b32 v102, v21                                      // 00000000C09C: D86C0000 66000015
	ds_read_b32 v103, v21 offset:64                            // 00000000C0A4: D86C0040 67000015
	ds_read_b32 v106, v21 offset:2176                          // 00000000C0AC: D86C0880 6A000015
	ds_read_b32 v107, v21 offset:2240                          // 00000000C0B4: D86C08C0 6B000015
	ds_read_b32 v110, v21 offset:4352                          // 00000000C0BC: D86C1100 6E000015
	ds_read_b32 v111, v21 offset:4416                          // 00000000C0C4: D86C1140 6F000015
	ds_read_b32 v114, v21 offset:6528                          // 00000000C0CC: D86C1980 72000015
	ds_read_b32 v115, v21 offset:6592                          // 00000000C0D4: D86C19C0 73000015
	ds_read_b32 v118, v21 offset:8704                          // 00000000C0DC: D86C2200 76000015
	ds_read_b32 v119, v21 offset:8768                          // 00000000C0E4: D86C2240 77000015
	ds_read_b32 v122, v21 offset:10880                         // 00000000C0EC: D86C2A80 7A000015
	ds_read_b32 v123, v21 offset:10944                         // 00000000C0F4: D86C2AC0 7B000015
	ds_read_b32 v126, v21 offset:13056                         // 00000000C0FC: D86C3300 7E000015
	ds_read_b32 v127, v21 offset:13120                         // 00000000C104: D86C3340 7F000015
	ds_read_b32 v130, v21 offset:15232                         // 00000000C10C: D86C3B80 82000015
	ds_read_b32 v131, v21 offset:15296                         // 00000000C114: D86C3BC0 83000015
	ds_read_b32 v134, v21 offset:17408                         // 00000000C11C: D86C4400 86000015
	ds_read_b32 v135, v21 offset:17472                         // 00000000C124: D86C4440 87000015
	ds_read_b32 v138, v21 offset:19584                         // 00000000C12C: D86C4C80 8A000015
	ds_read_b32 v139, v21 offset:19648                         // 00000000C134: D86C4CC0 8B000015
	ds_read_b32 v142, v21 offset:21760                         // 00000000C13C: D86C5500 8E000015
	ds_read_b32 v143, v21 offset:21824                         // 00000000C144: D86C5540 8F000015
	ds_read_b32 v146, v21 offset:23936                         // 00000000C14C: D86C5D80 92000015
	ds_read_b32 v147, v21 offset:24000                         // 00000000C154: D86C5DC0 93000015
	s_waitcnt lgkmcnt(0)                                       // 00000000C15C: BF8CC07F
	v_mov_b32_e32 v7, 0                                        // 00000000C160: 7E0E0280
	s_mov_b64 exec, s[36:37]                                   // 00000000C164: BEFE0124
	v_mov_b32_e32 v6, v42                                      // 00000000C168: 7E0C032A
	s_mov_b64 s[60:61], 0                                      // 00000000C16C: BEBC0180
	v_readlane_b32 s82, v3, 0                                  // 00000000C170: D2890052 00010103
	s_and_b32 s82, s82, 0xffffff                               // 00000000C178: 8652FF52 00FFFFFF
	s_cmp_lt_u32 s82, s66                                      // 00000000C180: BF0A4252
	s_cselect_b32 s20, s36, s60                                // 00000000C184: 85143C24
	v_readlane_b32 s82, v3, 1                                  // 00000000C188: D2890052 00010303
	s_and_b32 s82, s82, 0xffffff                               // 00000000C190: 8652FF52 00FFFFFF
	s_cmp_lt_u32 s82, s66                                      // 00000000C198: BF0A4252
	s_cselect_b32 s21, s36, s60                                // 00000000C19C: 85153C24
	s_mov_b64 exec, s[20:21]                                   // 00000000C1A0: BEFE0114
	global_atomic_add_f32 v6, v102, s[8:9] offset:8            // 00000000C1A4: DD348008 00086606
	global_atomic_add_f32 v6, v106, s[8:9] offset:264          // 00000000C1AC: DD348108 00086A06
	global_atomic_add_f32 v6, v110, s[8:9] offset:520          // 00000000C1B4: DD348208 00086E06
	global_atomic_add_f32 v6, v114, s[8:9] offset:776          // 00000000C1BC: DD348308 00087206
	s_mov_b64 exec, s[36:37]                                   // 00000000C1C4: BEFE0124
	v_mov_b32_e32 v6, v43                                      // 00000000C1C8: 7E0C032B
	s_mov_b64 s[60:61], 0                                      // 00000000C1CC: BEBC0180
	v_readlane_b32 s82, v3, 2                                  // 00000000C1D0: D2890052 00010503
	s_and_b32 s82, s82, 0xffffff                               // 00000000C1D8: 8652FF52 00FFFFFF
	s_cmp_lt_u32 s82, s66                                      // 00000000C1E0: BF0A4252
	s_cselect_b32 s20, s36, s60                                // 00000000C1E4: 85143C24
	v_readlane_b32 s82, v3, 3                                  // 00000000C1E8: D2890052 00010703
	s_and_b32 s82, s82, 0xffffff                               // 00000000C1F0: 8652FF52 00FFFFFF
	s_cmp_lt_u32 s82, s66                                      // 00000000C1F8: BF0A4252
	s_cselect_b32 s21, s36, s60                                // 00000000C1FC: 85153C24
	s_mov_b64 exec, s[20:21]                                   // 00000000C200: BEFE0114
	global_atomic_add_f32 v6, v103, s[8:9] offset:8            // 00000000C204: DD348008 00086706
	global_atomic_add_f32 v6, v107, s[8:9] offset:264          // 00000000C20C: DD348108 00086B06
	global_atomic_add_f32 v6, v111, s[8:9] offset:520          // 00000000C214: DD348208 00086F06
	global_atomic_add_f32 v6, v115, s[8:9] offset:776          // 00000000C21C: DD348308 00087306
	s_mov_b64 exec, s[36:37]                                   // 00000000C224: BEFE0124
	v_mov_b32_e32 v6, v44                                      // 00000000C228: 7E0C032C
	s_mov_b64 s[60:61], 0                                      // 00000000C22C: BEBC0180
	v_readlane_b32 s82, v3, 4                                  // 00000000C230: D2890052 00010903
	s_and_b32 s82, s82, 0xffffff                               // 00000000C238: 8652FF52 00FFFFFF
	s_cmp_lt_u32 s82, s66                                      // 00000000C240: BF0A4252
	s_cselect_b32 s20, s36, s60                                // 00000000C244: 85143C24
	v_readlane_b32 s82, v3, 5                                  // 00000000C248: D2890052 00010B03
	s_and_b32 s82, s82, 0xffffff                               // 00000000C250: 8652FF52 00FFFFFF
	s_cmp_lt_u32 s82, s66                                      // 00000000C258: BF0A4252
	s_cselect_b32 s21, s36, s60                                // 00000000C25C: 85153C24
	s_mov_b64 exec, s[20:21]                                   // 00000000C260: BEFE0114
	global_atomic_add_f32 v6, v118, s[8:9] offset:8            // 00000000C264: DD348008 00087606
	global_atomic_add_f32 v6, v122, s[8:9] offset:264          // 00000000C26C: DD348108 00087A06
	global_atomic_add_f32 v6, v126, s[8:9] offset:520          // 00000000C274: DD348208 00087E06
	global_atomic_add_f32 v6, v130, s[8:9] offset:776          // 00000000C27C: DD348308 00088206
	s_mov_b64 exec, s[36:37]                                   // 00000000C284: BEFE0124
	v_mov_b32_e32 v6, v45                                      // 00000000C288: 7E0C032D
	s_mov_b64 s[60:61], 0                                      // 00000000C28C: BEBC0180
	v_readlane_b32 s82, v3, 6                                  // 00000000C290: D2890052 00010D03
	s_and_b32 s82, s82, 0xffffff                               // 00000000C298: 8652FF52 00FFFFFF
	s_cmp_lt_u32 s82, s66                                      // 00000000C2A0: BF0A4252
	s_cselect_b32 s20, s36, s60                                // 00000000C2A4: 85143C24
	v_readlane_b32 s82, v3, 7                                  // 00000000C2A8: D2890052 00010F03
	s_and_b32 s82, s82, 0xffffff                               // 00000000C2B0: 8652FF52 00FFFFFF
	s_cmp_lt_u32 s82, s66                                      // 00000000C2B8: BF0A4252
	s_cselect_b32 s21, s36, s60                                // 00000000C2BC: 85153C24
	s_mov_b64 exec, s[20:21]                                   // 00000000C2C0: BEFE0114
	global_atomic_add_f32 v6, v119, s[8:9] offset:8            // 00000000C2C4: DD348008 00087706
	global_atomic_add_f32 v6, v123, s[8:9] offset:264          // 00000000C2CC: DD348108 00087B06
	global_atomic_add_f32 v6, v127, s[8:9] offset:520          // 00000000C2D4: DD348208 00087F06
	global_atomic_add_f32 v6, v131, s[8:9] offset:776          // 00000000C2DC: DD348308 00088306
	s_mov_b64 exec, s[36:37]                                   // 00000000C2E4: BEFE0124
	v_mov_b32_e32 v6, v46                                      // 00000000C2E8: 7E0C032E
	s_mov_b64 s[60:61], 0                                      // 00000000C2EC: BEBC0180
	v_readlane_b32 s82, v3, 8                                  // 00000000C2F0: D2890052 00011103
	s_and_b32 s82, s82, 0xffffff                               // 00000000C2F8: 8652FF52 00FFFFFF
	s_cmp_lt_u32 s82, s66                                      // 00000000C300: BF0A4252
	s_cselect_b32 s20, s36, s60                                // 00000000C304: 85143C24
	v_readlane_b32 s82, v3, 9                                  // 00000000C308: D2890052 00011303
	s_and_b32 s82, s82, 0xffffff                               // 00000000C310: 8652FF52 00FFFFFF
	s_cmp_lt_u32 s82, s66                                      // 00000000C318: BF0A4252
	s_cselect_b32 s21, s36, s60                                // 00000000C31C: 85153C24
	s_mov_b64 exec, s[20:21]                                   // 00000000C320: BEFE0114
	global_atomic_add_f32 v6, v134, s[8:9] offset:8            // 00000000C324: DD348008 00088606
	global_atomic_add_f32 v6, v138, s[8:9] offset:264          // 00000000C32C: DD348108 00088A06
	global_atomic_add_f32 v6, v142, s[8:9] offset:520          // 00000000C334: DD348208 00088E06
	global_atomic_add_f32 v6, v146, s[8:9] offset:776          // 00000000C33C: DD348308 00089206
	s_mov_b64 exec, s[36:37]                                   // 00000000C344: BEFE0124
	v_mov_b32_e32 v6, v47                                      // 00000000C348: 7E0C032F
	s_mov_b64 s[60:61], 0                                      // 00000000C34C: BEBC0180
	v_readlane_b32 s82, v3, 10                                 // 00000000C350: D2890052 00011503
	s_and_b32 s82, s82, 0xffffff                               // 00000000C358: 8652FF52 00FFFFFF
	s_cmp_lt_u32 s82, s66                                      // 00000000C360: BF0A4252
	s_cselect_b32 s20, s36, s60                                // 00000000C364: 85143C24
	v_readlane_b32 s82, v3, 11                                 // 00000000C368: D2890052 00011703
	s_and_b32 s82, s82, 0xffffff                               // 00000000C370: 8652FF52 00FFFFFF
	s_cmp_lt_u32 s82, s66                                      // 00000000C378: BF0A4252
	s_cselect_b32 s21, s36, s60                                // 00000000C37C: 85153C24
	s_mov_b64 exec, s[20:21]                                   // 00000000C380: BEFE0114
	global_atomic_add_f32 v6, v135, s[8:9] offset:8            // 00000000C384: DD348008 00088706
	global_atomic_add_f32 v6, v139, s[8:9] offset:264          // 00000000C38C: DD348108 00088B06
	global_atomic_add_f32 v6, v143, s[8:9] offset:520          // 00000000C394: DD348208 00088F06
	global_atomic_add_f32 v6, v147, s[8:9] offset:776          // 00000000C39C: DD348308 00089306
	s_mov_b64 exec, s[36:37]                                   // 00000000C3A4: BEFE0124
	s_branch label_266E                                        // 00000000C3A8: BF820000

000000000000c3ac <label_266E>:
	s_waitcnt vmcnt(0) expcnt(0) lgkmcnt(0)                    // 00000000C3AC: BF8C0000
	s_endpgm                                                   // 00000000C3B0: BF810000
